;; amdgpu-corpus repo=zjin-lcf/HeCBench kind=compiled arch=gfx1250 opt=O3
	.amdgcn_target "amdgcn-amd-amdhsa--gfx1250"
	.amdhsa_code_object_version 6
	.section	.text._Z13gqsort_kernelIjEvPT_S1_P12block_recordIS0_EP13parent_recordP11work_recordIS0_E,"axG",@progbits,_Z13gqsort_kernelIjEvPT_S1_P12block_recordIS0_EP13parent_recordP11work_recordIS0_E,comdat
	.protected	_Z13gqsort_kernelIjEvPT_S1_P12block_recordIS0_EP13parent_recordP11work_recordIS0_E ; -- Begin function _Z13gqsort_kernelIjEvPT_S1_P12block_recordIS0_EP13parent_recordP11work_recordIS0_E
	.globl	_Z13gqsort_kernelIjEvPT_S1_P12block_recordIS0_EP13parent_recordP11work_recordIS0_E
	.p2align	8
	.type	_Z13gqsort_kernelIjEvPT_S1_P12block_recordIS0_EP13parent_recordP11work_recordIS0_E,@function
_Z13gqsort_kernelIjEvPT_S1_P12block_recordIS0_EP13parent_recordP11work_recordIS0_E: ; @_Z13gqsort_kernelIjEvPT_S1_P12block_recordIS0_EP13parent_recordP11work_recordIS0_E
; %bb.0:
	s_load_b256 s[12:19], s[0:1], 0x0
	s_bfe_u32 s2, ttmp6, 0x4000c
	s_and_b32 s3, ttmp6, 15
	s_add_co_i32 s2, s2, 1
	s_getreg_b32 s4, hwreg(HW_REG_IB_STS2, 6, 4)
	s_mul_i32 s2, ttmp9, s2
	s_mov_b32 s21, 0
	s_add_co_i32 s3, s3, s2
	s_cmp_eq_u32 s4, 0
	v_dual_mov_b32 v3, 0 :: v_dual_lshlrev_b32 v8, 2, v0
	s_cselect_b32 s20, ttmp9, s3
	v_mov_b32_e32 v4, 0
	s_mul_u64 s[2:3], s[20:21], 20
	s_delay_alu instid0(VALU_DEP_2)
	v_add_nc_u32_e32 v1, 0x210, v8
	s_wait_kmcnt 0x0
	s_add_nc_u64 s[2:3], s[16:17], s[2:3]
	s_clause 0x1
	s_load_b128 s[8:11], s[2:3], 0x0
	s_load_b32 s22, s[2:3], 0x10
	ds_store_2addr_b32 v8, v3, v3 offset1:132
	s_wait_dscnt 0x0
	s_barrier_signal -1
	s_barrier_wait -1
	s_wait_kmcnt 0x0
	v_add_nc_u32_e32 v2, s8, v0
	s_cmp_eq_u32 s11, 1
	s_cselect_b32 s21, -1, 0
	s_delay_alu instid0(SALU_CYCLE_1) | instskip(NEXT) | instid1(VALU_DEP_1)
	s_and_b32 s2, s21, exec_lo
	v_cmp_gt_u32_e32 vcc_lo, s9, v2
	s_cselect_b32 s17, s13, s15
	s_cselect_b32 s16, s12, s14
	s_and_saveexec_b32 s4, vcc_lo
	s_cbranch_execz .LBB0_12
; %bb.1:
	v_add_max_u32_e64 v7, 0x80, v2, s9
	v_mov_b32_e32 v5, v2
	s_mov_b32 s3, -1
	s_mov_b32 s6, exec_lo
	v_mov_b32_e32 v4, 0
	v_xad_u32 v3, v0, -1, v7
	s_delay_alu instid0(VALU_DEP_1) | instskip(SKIP_1) | instid1(VALU_DEP_2)
	v_subrev_nc_u32_e32 v6, s8, v3
	v_mov_b32_e32 v3, 0
	v_cmp_gt_u32_e64 s5, 0x980, v6
	v_cmpx_lt_u32_e32 0x97f, v6
	s_cbranch_execz .LBB0_7
; %bb.2:
	v_dual_mov_b32 v4, 0 :: v_dual_sub_nc_u32 v3, v0, v7
	s_delay_alu instid0(VALU_DEP_1) | instskip(NEXT) | instid1(VALU_DEP_1)
	v_add_nc_u32_e32 v3, s8, v3
	v_or_b32_e32 v5, 0x7f, v3
	v_mov_b32_e32 v3, 0
	s_delay_alu instid0(VALU_DEP_2)
	v_cmp_ge_u32_e64 s2, v5, v2
	v_mov_b32_e32 v5, v2
	s_and_saveexec_b32 s7, s2
	s_cbranch_execz .LBB0_6
; %bb.3:
	v_dual_lshrrev_b32 v3, 7, v6 :: v_dual_mov_b32 v5, 0
	s_mov_b32 s8, s10
	s_mov_b32 s24, s10
	;; [unrolled: 1-line block ×3, first 2 shown]
	s_delay_alu instid0(VALU_DEP_1) | instskip(SKIP_1) | instid1(VALU_DEP_2)
	v_dual_add_nc_u32 v9, 1, v3 :: v_dual_mov_b32 v11, 0
	v_dual_mov_b32 v12, 0 :: v_dual_add_nc_u32 v3, 0x80, v2
	v_and_b32_e32 v10, 0x3fffffe, v9
	v_mov_b32_e32 v13, 0
	s_delay_alu instid0(VALU_DEP_3) | instskip(NEXT) | instid1(VALU_DEP_3)
	v_mov_b64_e32 v[6:7], v[2:3]
	v_dual_mov_b32 v3, 0 :: v_dual_mov_b32 v14, v10
.LBB0_4:                                ; =>This Inner Loop Header: Depth=1
	s_delay_alu instid0(VALU_DEP_1) | instskip(SKIP_1) | instid1(VALU_DEP_2)
	v_dual_mov_b32 v4, v6 :: v_dual_add_nc_u32 v14, -2, v14
	v_add_nc_u32_e32 v6, 0x100, v6
	v_lshl_add_u64 v[16:17], v[4:5], 2, s[16:17]
	v_dual_mov_b32 v4, v7 :: v_dual_add_nc_u32 v7, 0x100, v7
	s_delay_alu instid0(VALU_DEP_4)
	v_cmp_eq_u32_e64 s2, 0, v14
	global_load_b32 v15, v[16:17], off
	s_wait_xcnt 0x0
	v_lshl_add_u64 v[16:17], v[4:5], 2, s[16:17]
	s_or_b32 s23, s2, s23
	global_load_b32 v4, v[16:17], off
	s_wait_loadcnt 0x1
	v_cmp_gt_u32_e64 s3, s8, v15
	s_delay_alu instid0(VALU_DEP_1) | instskip(SKIP_1) | instid1(VALU_DEP_1)
	v_add_co_ci_u32_e64 v3, null, 0, v3, s3
	v_cmp_lt_u32_e64 s3, s8, v15
	v_add_co_ci_u32_e64 v12, null, 0, v12, s3
	s_wait_loadcnt 0x0
	v_cmp_gt_u32_e64 s3, s24, v4
	s_delay_alu instid0(VALU_DEP_1) | instskip(SKIP_1) | instid1(VALU_DEP_1)
	v_add_co_ci_u32_e64 v11, null, 0, v11, s3
	v_cmp_lt_u32_e64 s3, s24, v4
	v_add_co_ci_u32_e64 v13, null, 0, v13, s3
	s_and_not1_b32 exec_lo, exec_lo, s23
	s_cbranch_execnz .LBB0_4
; %bb.5:
	s_or_b32 exec_lo, exec_lo, s23
	v_cmp_ne_u32_e64 s2, v9, v10
	v_lshl_add_u32 v5, v10, 7, v2
	v_dual_add_nc_u32 v4, v3, v11 :: v_dual_add_nc_u32 v3, v12, v13
	s_or_not1_b32 s3, s2, exec_lo
.LBB0_6:
	s_or_b32 exec_lo, exec_lo, s7
	s_delay_alu instid0(SALU_CYCLE_1) | instskip(SKIP_1) | instid1(SALU_CYCLE_1)
	s_and_not1_b32 s2, s5, exec_lo
	s_and_b32 s3, s3, exec_lo
	s_or_b32 s5, s2, s3
.LBB0_7:
	s_or_b32 exec_lo, exec_lo, s6
	s_and_saveexec_b32 s6, s5
	s_cbranch_execz .LBB0_11
; %bb.8:
	s_mov_b32 s5, 0
.LBB0_9:                                ; =>This Inner Loop Header: Depth=1
	global_load_b32 v6, v5, s[16:17] scale_offset
	s_wait_xcnt 0x0
	v_add_nc_u32_e32 v5, 0x80, v5
	s_delay_alu instid0(VALU_DEP_1) | instskip(SKIP_3) | instid1(VALU_DEP_1)
	v_cmp_le_u32_e64 s2, s9, v5
	s_or_b32 s5, s2, s5
	s_wait_loadcnt 0x0
	v_cmp_gt_u32_e64 s3, s10, v6
	v_add_co_ci_u32_e64 v4, null, 0, v4, s3
	v_cmp_lt_u32_e64 s3, s10, v6
	s_delay_alu instid0(VALU_DEP_1)
	v_add_co_ci_u32_e64 v3, null, 0, v3, s3
	s_and_not1_b32 exec_lo, exec_lo, s5
	s_cbranch_execnz .LBB0_9
; %bb.10:
	s_or_b32 exec_lo, exec_lo, s5
.LBB0_11:
	s_delay_alu instid0(SALU_CYCLE_1)
	s_or_b32 exec_lo, exec_lo, s6
.LBB0_12:
	s_delay_alu instid0(SALU_CYCLE_1)
	s_or_b32 exec_lo, exec_lo, s4
	v_and_b32_e32 v5, 1, v0
	ds_store_b32 v1, v4
	ds_store_b32 v8, v3
	v_dual_add_nc_u32 v3, -4, v1 :: v_dual_add_nc_u32 v4, -4, v8
	s_wait_dscnt 0x0
	v_cmp_eq_u32_e64 s2, 1, v5
	s_barrier_signal -1
	s_barrier_wait -1
	s_and_saveexec_b32 s3, s2
	s_cbranch_execz .LBB0_14
; %bb.13:
	ds_load_2addr_b32 v[6:7], v3 offset1:1
	ds_load_2addr_b32 v[10:11], v4 offset1:1
	s_wait_dscnt 0x1
	v_add_nc_u32_e32 v5, v7, v6
	s_wait_dscnt 0x0
	v_add_nc_u32_e32 v6, v11, v10
	ds_store_b32 v1, v5
	ds_store_b32 v8, v6
.LBB0_14:
	s_or_b32 exec_lo, exec_lo, s3
	v_dual_add_nc_u32 v5, -8, v1 :: v_dual_bitop2_b32 v6, 3, v0 bitop3:0x40
	s_wait_dscnt 0x0
	s_barrier_signal -1
	s_barrier_wait -1
	s_delay_alu instid0(VALU_DEP_1)
	v_cmp_eq_u32_e64 s3, 3, v6
	v_add_nc_u32_e32 v6, -8, v8
	s_and_saveexec_b32 s4, s3
	s_cbranch_execz .LBB0_16
; %bb.15:
	ds_load_b32 v7, v5
	ds_load_b32 v9, v6
	;; [unrolled: 1-line block ×4, first 2 shown]
	s_wait_dscnt 0x0
	v_dual_add_nc_u32 v7, v10, v7 :: v_dual_add_nc_u32 v9, v11, v9
	ds_store_b32 v1, v7
	ds_store_b32 v8, v9
.LBB0_16:
	s_or_b32 exec_lo, exec_lo, s4
	v_dual_add_nc_u32 v7, -16, v1 :: v_dual_bitop2_b32 v9, 7, v0 bitop3:0x40
	s_wait_dscnt 0x0
	s_barrier_signal -1
	s_barrier_wait -1
	s_delay_alu instid0(VALU_DEP_1)
	v_cmp_eq_u32_e64 s4, 7, v9
	v_add_nc_u32_e32 v9, -16, v8
	s_and_saveexec_b32 s5, s4
	s_cbranch_execz .LBB0_18
; %bb.17:
	ds_load_b32 v10, v7
	ds_load_b32 v11, v9
	;; [unrolled: 1-line block ×4, first 2 shown]
	s_wait_dscnt 0x0
	v_dual_add_nc_u32 v10, v12, v10 :: v_dual_add_nc_u32 v11, v13, v11
	ds_store_b32 v1, v10
	ds_store_b32 v8, v11
.LBB0_18:
	s_or_b32 exec_lo, exec_lo, s5
	v_and_b32_e32 v11, 15, v0
	v_subrev_nc_u32_e32 v10, 32, v1
	s_wait_dscnt 0x0
	s_barrier_signal -1
	s_barrier_wait -1
	v_cmp_eq_u32_e64 s5, 15, v11
	v_subrev_nc_u32_e32 v11, 32, v8
	s_and_saveexec_b32 s6, s5
	s_cbranch_execz .LBB0_20
; %bb.19:
	ds_load_b32 v12, v10
	ds_load_b32 v13, v11
	;; [unrolled: 1-line block ×4, first 2 shown]
	s_wait_dscnt 0x0
	v_dual_add_nc_u32 v12, v14, v12 :: v_dual_add_nc_u32 v13, v15, v13
	ds_store_b32 v1, v12
	ds_store_b32 v8, v13
.LBB0_20:
	s_or_b32 exec_lo, exec_lo, s6
	v_and_b32_e32 v13, 31, v0
	v_subrev_nc_u32_e32 v12, 64, v1
	s_wait_dscnt 0x0
	s_barrier_signal -1
	s_barrier_wait -1
	v_cmp_eq_u32_e64 s6, 31, v13
	v_subrev_nc_u32_e32 v13, 64, v8
	s_and_saveexec_b32 s7, s6
	s_cbranch_execz .LBB0_22
; %bb.21:
	ds_load_b32 v14, v12
	ds_load_b32 v15, v13
	;; [unrolled: 1-line block ×4, first 2 shown]
	s_wait_dscnt 0x0
	v_dual_add_nc_u32 v14, v16, v14 :: v_dual_add_nc_u32 v15, v17, v15
	ds_store_b32 v1, v14
	ds_store_b32 v8, v15
.LBB0_22:
	s_or_b32 exec_lo, exec_lo, s7
	v_and_b32_e32 v15, 63, v0
	v_add_nc_u32_e32 v14, 0xffffff80, v1
	s_wait_dscnt 0x0
	s_barrier_signal -1
	s_barrier_wait -1
	v_cmp_eq_u32_e64 s7, 63, v15
	v_add_nc_u32_e32 v15, 0xffffff80, v8
	s_and_saveexec_b32 s8, s7
	s_cbranch_execz .LBB0_24
; %bb.23:
	ds_load_b32 v16, v14
	ds_load_b32 v17, v15
	;; [unrolled: 1-line block ×4, first 2 shown]
	s_wait_dscnt 0x0
	v_dual_add_nc_u32 v16, v18, v16 :: v_dual_add_nc_u32 v17, v19, v17
	ds_store_b32 v1, v16
	ds_store_b32 v8, v17
.LBB0_24:
	s_or_b32 exec_lo, exec_lo, s8
	v_and_b32_e32 v17, 0x7f, v0
	v_add_nc_u32_e32 v16, 0xffffff00, v1
	s_wait_dscnt 0x0
	s_barrier_signal -1
	s_barrier_wait -1
	v_cmp_eq_u32_e64 s8, 0x7f, v17
	v_add_nc_u32_e32 v17, 0xffffff00, v8
	s_and_saveexec_b32 s23, s8
	s_cbranch_execz .LBB0_26
; %bb.25:
	ds_load_b32 v18, v16
	ds_load_b32 v19, v17
	;; [unrolled: 1-line block ×4, first 2 shown]
	s_wait_dscnt 0x0
	v_dual_add_nc_u32 v18, v20, v18 :: v_dual_add_nc_u32 v19, v21, v19
	ds_store_b32 v1, v18
	ds_store_b32 v8, v19
.LBB0_26:
	s_or_b32 exec_lo, exec_lo, s23
	s_wait_dscnt 0x0
	s_barrier_signal -1
	s_barrier_wait -1
	s_and_saveexec_b32 s23, s8
	s_cbranch_execz .LBB0_28
; %bb.27:
	ds_load_b32 v18, v1
	ds_load_b32 v20, v8
	s_wait_dscnt 0x1
	v_dual_mov_b32 v21, 0 :: v_dual_mov_b32 v19, v18
	s_wait_dscnt 0x0
	ds_store_2addr_b32 v21, v20, v20 offset0:128 offset1:131
	ds_store_b64 v21, v[18:19] offset:1040
	ds_store_b32 v1, v21
	ds_store_b32 v8, v21
.LBB0_28:
	s_or_b32 exec_lo, exec_lo, s23
	s_and_saveexec_b32 s23, s8
	s_cbranch_execz .LBB0_30
; %bb.29:
	ds_load_b32 v18, v16
	ds_load_b32 v19, v17
	ds_load_b32 v20, v1
	ds_load_b32 v21, v8
	s_wait_dscnt 0x0
	v_dual_add_nc_u32 v18, v20, v18 :: v_dual_add_nc_u32 v19, v21, v19
	ds_store_b32 v16, v20
	ds_store_b32 v17, v21
	ds_store_b32 v1, v18
	ds_store_b32 v8, v19
.LBB0_30:
	s_or_b32 exec_lo, exec_lo, s23
	s_wait_dscnt 0x0
	s_barrier_signal -1
	s_barrier_wait -1
	s_and_saveexec_b32 s8, s7
	s_cbranch_execz .LBB0_32
; %bb.31:
	ds_load_b32 v16, v14
	ds_load_b32 v17, v15
	ds_load_b32 v18, v1
	ds_load_b32 v19, v8
	s_wait_dscnt 0x0
	v_dual_add_nc_u32 v16, v18, v16 :: v_dual_add_nc_u32 v17, v19, v17
	ds_store_b32 v14, v18
	ds_store_b32 v15, v19
	ds_store_b32 v1, v16
	ds_store_b32 v8, v17
.LBB0_32:
	s_or_b32 exec_lo, exec_lo, s8
	s_wait_dscnt 0x0
	s_barrier_signal -1
	s_barrier_wait -1
	;; [unrolled: 18-line block ×4, first 2 shown]
	s_and_saveexec_b32 s5, s4
	s_cbranch_execz .LBB0_38
; %bb.37:
	ds_load_b32 v10, v7
	ds_load_b32 v11, v9
	;; [unrolled: 1-line block ×4, first 2 shown]
	s_wait_dscnt 0x0
	v_dual_add_nc_u32 v10, v12, v10 :: v_dual_add_nc_u32 v11, v13, v11
	ds_store_b32 v7, v12
	ds_store_b32 v9, v13
	;; [unrolled: 1-line block ×4, first 2 shown]
.LBB0_38:
	s_or_b32 exec_lo, exec_lo, s5
	s_load_b64 s[4:5], s[0:1], 0x20
	s_wait_dscnt 0x0
	s_barrier_signal -1
	s_barrier_wait -1
	s_wait_xcnt 0x0
	s_and_saveexec_b32 s0, s3
	s_cbranch_execz .LBB0_40
; %bb.39:
	ds_load_b32 v7, v5
	ds_load_b32 v9, v6
	;; [unrolled: 1-line block ×4, first 2 shown]
	s_wait_dscnt 0x0
	v_dual_add_nc_u32 v7, v10, v7 :: v_dual_add_nc_u32 v9, v11, v9
	ds_store_b32 v5, v10
	ds_store_b32 v6, v11
	;; [unrolled: 1-line block ×4, first 2 shown]
.LBB0_40:
	s_or_b32 exec_lo, exec_lo, s0
	s_wait_dscnt 0x0
	s_barrier_signal -1
	s_barrier_wait -1
	s_and_saveexec_b32 s0, s2
	s_cbranch_execz .LBB0_42
; %bb.41:
	ds_load_2addr_b32 v[6:7], v3 offset1:1
	ds_load_2addr_b32 v[10:11], v4 offset1:1
	s_wait_dscnt 0x1
	v_add_nc_u32_e32 v5, v7, v6
	s_wait_dscnt 0x0
	v_add_nc_u32_e32 v6, v11, v10
	ds_store_2addr_b32 v3, v7, v5 offset1:1
	ds_store_2addr_b32 v4, v11, v6 offset1:1
.LBB0_42:
	s_or_b32 exec_lo, exec_lo, s0
	v_cmp_eq_u32_e64 s0, 0, v0
	s_mov_b32 s23, 0
	s_wait_dscnt 0x0
	s_barrier_signal -1
	s_barrier_wait -1
                                        ; implicit-def: $sgpr30_sgpr31
                                        ; implicit-def: $sgpr28_sgpr29
                                        ; implicit-def: $sgpr26_sgpr27
                                        ; implicit-def: $sgpr24_sgpr25
                                        ; implicit-def: $sgpr6_sgpr7
	s_and_saveexec_b32 s2, s0
	s_cbranch_execz .LBB0_48
; %bb.43:
	v_mov_b32_e32 v0, 0
	s_mov_b32 s3, exec_lo
	s_mul_u64 s[6:7], s[22:23], 20
	v_mbcnt_lo_u32_b32 v5, s3, 0
	s_add_nc_u64 s[6:7], s[18:19], s[6:7]
	ds_load_b32 v4, v0 offset:1044
	s_mov_b32 s8, exec_lo
                                        ; implicit-def: $vgpr6
	v_cmpx_eq_u32_e32 0, v5
	s_cbranch_execz .LBB0_45
; %bb.44:
	s_bcnt1_i32_b32 s1, s3
	s_wait_dscnt 0x0
	v_mul_lo_u32 v3, v4, s1
	global_atomic_add_u32 v6, v0, v3, s[6:7] th:TH_ATOMIC_RETURN scope:SCOPE_DEV
.LBB0_45:
	s_wait_xcnt 0x0
	s_or_b32 exec_lo, exec_lo, s8
	ds_load_b32 v3, v0 offset:524
	s_wait_loadcnt 0x0
	v_readfirstlane_b32 s1, v6
	s_mov_b32 s3, exec_lo
	s_add_nc_u64 s[24:25], s[6:7], 4
	s_mov_b32 s8, exec_lo
	s_wait_dscnt 0x1
	v_mad_u32 v6, v4, v5, s1
	v_mbcnt_lo_u32_b32 v4, s3, 0
	ds_store_b32 v0, v6 offset:520
                                        ; implicit-def: $vgpr0
	s_wait_dscnt 0x1
	v_sub_nc_u32_e32 v5, 0, v3
	v_cmpx_eq_u32_e32 0, v4
	s_cbranch_execz .LBB0_47
; %bb.46:
	s_bcnt1_i32_b32 s1, s3
	v_mov_b32_e32 v6, 0
	v_mul_lo_u32 v0, v5, s1
	global_atomic_add_u32 v0, v6, v0, s[24:25] th:TH_ATOMIC_RETURN scope:SCOPE_DEV
.LBB0_47:
	s_wait_xcnt 0x0
	s_or_b32 exec_lo, exec_lo, s8
	s_wait_loadcnt 0x0
	v_readfirstlane_b32 s1, v0
	s_add_nc_u64 s[26:27], s[6:7], 8
	s_add_nc_u64 s[28:29], s[6:7], 12
	;; [unrolled: 1-line block ×3, first 2 shown]
	v_mad_u32 v0, v5, v4, s1
	s_delay_alu instid0(VALU_DEP_1)
	v_dual_mov_b32 v3, 0 :: v_dual_sub_nc_u32 v0, v0, v3
	ds_store_b32 v3, v0 offset:516
.LBB0_48:
	s_or_b32 exec_lo, exec_lo, s2
	s_delay_alu instid0(SALU_CYCLE_1)
	s_and_b32 s1, s21, exec_lo
	s_cselect_b32 s3, s15, s13
	s_cselect_b32 s2, s14, s12
	s_wait_dscnt 0x0
	s_barrier_signal -1
	s_barrier_wait -1
	s_and_saveexec_b32 s1, vcc_lo
	s_cbranch_execz .LBB0_55
; %bb.49:
	v_mov_b32_e32 v0, 0
	s_mov_b32 s8, 0
	ds_load_b32 v3, v8
	ds_load_2addr_b32 v[4:5], v0 offset0:129 offset1:130
	ds_load_b32 v1, v1
	s_wait_dscnt 0x0
	v_dual_add_nc_u32 v0, v3, v4 :: v_dual_add_nc_u32 v1, v1, v5
	s_branch .LBB0_51
.LBB0_50:                               ;   in Loop: Header=BB0_51 Depth=1
	s_or_b32 exec_lo, exec_lo, s14
	v_add_nc_u32_e32 v2, 0x80, v2
	s_delay_alu instid0(VALU_DEP_1) | instskip(SKIP_1) | instid1(SALU_CYCLE_1)
	v_cmp_le_u32_e32 vcc_lo, s9, v2
	s_or_b32 s8, vcc_lo, s8
	s_and_not1_b32 exec_lo, exec_lo, s8
	s_cbranch_execz .LBB0_55
.LBB0_51:                               ; =>This Inner Loop Header: Depth=1
	global_load_b32 v3, v2, s[16:17] scale_offset
	s_mov_b32 s14, exec_lo
	s_wait_loadcnt 0x0
	s_wait_xcnt 0x0
	v_cmpx_gt_u32_e64 s10, v3
	s_cbranch_execz .LBB0_53
; %bb.52:                               ;   in Loop: Header=BB0_51 Depth=1
	v_add_nc_u32_e32 v4, 1, v1
	global_store_b32 v1, v3, s[2:3] scale_offset
	s_wait_xcnt 0x0
	v_mov_b32_e32 v1, v4
.LBB0_53:                               ;   in Loop: Header=BB0_51 Depth=1
	s_or_b32 exec_lo, exec_lo, s14
	s_delay_alu instid0(SALU_CYCLE_1)
	s_mov_b32 s14, exec_lo
	v_cmpx_lt_u32_e64 s10, v3
	s_cbranch_execz .LBB0_50
; %bb.54:                               ;   in Loop: Header=BB0_51 Depth=1
	v_add_nc_u32_e32 v4, 1, v0
	global_store_b32 v0, v3, s[2:3] scale_offset
	s_wait_xcnt 0x0
	v_mov_b32_e32 v0, v4
	s_branch .LBB0_50
.LBB0_55:
	s_or_b32 exec_lo, exec_lo, s1
	s_wait_storecnt 0x0
	s_barrier_signal -1
	s_barrier_wait -1
	s_and_saveexec_b32 s1, s0
	s_cbranch_execz .LBB0_72
; %bb.56:
	s_mov_b32 s1, exec_lo
	s_mov_b32 s0, exec_lo
	v_mbcnt_lo_u32_b32 v0, s1, 0
                                        ; implicit-def: $vgpr1
	s_delay_alu instid0(VALU_DEP_1)
	v_cmpx_eq_u32_e32 0, v0
	s_cbranch_execz .LBB0_58
; %bb.57:
	s_bcnt1_i32_b32 s1, s1
	s_delay_alu instid0(SALU_CYCLE_1) | instskip(NEXT) | instid1(SALU_CYCLE_1)
	s_sub_co_i32 s1, 0, s1
	v_dual_mov_b32 v1, 0 :: v_dual_mov_b32 v2, s1
	global_atomic_add_u32 v1, v1, v2, s[30:31] th:TH_ATOMIC_RETURN scope:SCOPE_DEV
.LBB0_58:
	s_wait_xcnt 0x0
	s_or_b32 exec_lo, exec_lo, s0
	s_wait_loadcnt 0x0
	v_readfirstlane_b32 s0, v1
	s_delay_alu instid0(VALU_DEP_1) | instskip(NEXT) | instid1(VALU_DEP_1)
	v_sub_nc_u32_e32 v0, s0, v0
	v_cmp_eq_u32_e32 vcc_lo, 0, v0
	s_and_b32 exec_lo, exec_lo, vcc_lo
	s_cbranch_execz .LBB0_72
; %bb.59:
	v_mov_b32_e32 v0, 0
	s_clause 0x3
	global_load_b32 v2, v0, s[6:7]
	global_load_b32 v3, v0, s[24:25]
	;; [unrolled: 1-line block ×4, first 2 shown]
	s_wait_loadcnt 0x3
	v_readfirstlane_b32 s9, v2
	s_wait_loadcnt 0x2
	v_cmp_le_u32_e32 vcc_lo, v3, v2
	v_readfirstlane_b32 s8, v3
	s_cbranch_vccnz .LBB0_67
; %bb.60:
	s_sub_co_i32 s6, s8, s9
	s_mov_b32 s1, -1
	s_cmp_lt_u32 s6, 2
	s_mov_b32 s0, s9
	s_cbranch_scc1 .LBB0_64
; %bb.61:
	s_mov_b32 s0, s10
	s_mov_b32 s1, s10
	s_wait_xcnt 0x0
	v_mov_b32_e32 v0, 0
	v_mov_b64_e32 v[2:3], s[0:1]
	s_and_b32 s7, s6, -2
	s_mov_b32 s1, 0
	s_mov_b32 s0, s9
	;; [unrolled: 1-line block ×3, first 2 shown]
.LBB0_62:                               ; =>This Inner Loop Header: Depth=1
	s_wait_xcnt 0x0
	s_lshl_b64 s[16:17], s[0:1], 2
	s_add_co_i32 s14, s14, -2
	s_add_co_i32 s0, s0, 2
	s_add_nc_u64 s[16:17], s[12:13], s[16:17]
	s_cmp_lg_u32 s14, 0
	global_store_b64 v0, v[2:3], s[16:17]
	s_cbranch_scc1 .LBB0_62
; %bb.63:
	s_add_co_i32 s0, s9, s7
	s_cmp_lg_u32 s6, s7
	s_cselect_b32 s1, -1, 0
.LBB0_64:
	s_delay_alu instid0(SALU_CYCLE_1)
	s_and_b32 vcc_lo, exec_lo, s1
	s_cbranch_vccz .LBB0_67
; %bb.65:
	s_mov_b32 s1, 0
	s_wait_xcnt 0x0
	v_dual_mov_b32 v0, 0 :: v_dual_mov_b32 v2, s10
	s_lshl_b64 s[6:7], s[0:1], 2
	s_delay_alu instid0(SALU_CYCLE_1)
	s_add_nc_u64 s[6:7], s[12:13], s[6:7]
.LBB0_66:                               ; =>This Inner Loop Header: Depth=1
	s_add_co_i32 s0, s0, 1
	global_store_b32 v0, v2, s[6:7]
	s_cmp_lt_u32 s0, s8
	s_wait_xcnt 0x0
	s_add_nc_u64 s[6:7], s[6:7], 4
	s_cbranch_scc1 .LBB0_66
.LBB0_67:
	s_wait_loadcnt 0x0
	v_add_nc_u32_e32 v0, -1, v1
	v_cmp_le_u32_e32 vcc_lo, s9, v4
	s_clause 0x1
	global_load_b32 v6, v4, s[2:3] scale_offset
	global_load_b32 v2, v0, s[2:3] scale_offset
	s_cbranch_vccnz .LBB0_69
; %bb.68:
	s_add_co_i32 s0, s9, -1
	s_wait_xcnt 0x0
	v_dual_mov_b32 v3, s0 :: v_dual_add_nc_u32 v0, s9, v4
	s_delay_alu instid0(VALU_DEP_1)
	v_lshrrev_b32_e32 v0, 1, v0
	s_clause 0x1
	global_load_b32 v5, v0, s[2:3] scale_offset
	global_load_b32 v7, v3, s[2:3] scale_offset
	s_wait_loadcnt 0x1
	s_wait_xcnt 0x1
	v_min_u32_e32 v0, v6, v5
	s_wait_xcnt 0x0
	v_max_u32_e32 v3, v6, v5
	s_wait_loadcnt 0x0
	s_delay_alu instid0(VALU_DEP_2) | instskip(NEXT) | instid1(VALU_DEP_2)
	v_max_u32_e32 v0, v0, v7
	v_cmp_lt_u32_e32 vcc_lo, v3, v7
	s_delay_alu instid0(VALU_DEP_2)
	v_cndmask_b32_e32 v6, v0, v3, vcc_lo
.LBB0_69:
	v_cmp_ge_u32_e32 vcc_lo, s8, v1
	s_cbranch_vccnz .LBB0_71
; %bb.70:
	s_wait_xcnt 0x0
	v_dual_mov_b32 v3, s8 :: v_dual_add_nc_u32 v0, s8, v1
	s_delay_alu instid0(VALU_DEP_1)
	v_lshrrev_b32_e32 v0, 1, v0
	s_clause 0x1
	global_load_b32 v5, v3, s[2:3] scale_offset
	global_load_b32 v7, v0, s[2:3] scale_offset
	s_wait_loadcnt 0x0
	v_min_u32_e32 v0, v5, v7
	v_max_u32_e32 v3, v5, v7
	s_delay_alu instid0(VALU_DEP_2) | instskip(NEXT) | instid1(VALU_DEP_2)
	v_max_u32_e32 v0, v0, v2
	v_cmp_lt_u32_e32 vcc_lo, v3, v2
	s_delay_alu instid0(VALU_DEP_2)
	v_cndmask_b32_e32 v2, v0, v3, vcc_lo
.LBB0_71:
	s_xor_b32 s0, s11, 1
	s_delay_alu instid0(SALU_CYCLE_1) | instskip(SKIP_3) | instid1(VALU_DEP_2)
	v_dual_mov_b32 v5, s9 :: v_dual_mov_b32 v7, s0
	s_lshl_b32 s0, s20, 1
	s_wait_xcnt 0x0
	v_dual_mov_b32 v0, s8 :: v_dual_mov_b32 v8, s0
	v_mov_b32_e32 v3, v7
	s_wait_loadcnt 0x1
	s_wait_kmcnt 0x0
	global_store_b128 v8, v[4:7], s[4:5] scale_offset
	s_wait_loadcnt 0x0
	global_store_b128 v8, v[0:3], s[4:5] offset:16 scale_offset
.LBB0_72:
	s_endpgm
	.section	.rodata,"a",@progbits
	.p2align	6, 0x0
	.amdhsa_kernel _Z13gqsort_kernelIjEvPT_S1_P12block_recordIS0_EP13parent_recordP11work_recordIS0_E
		.amdhsa_group_segment_fixed_size 1048
		.amdhsa_private_segment_fixed_size 0
		.amdhsa_kernarg_size 40
		.amdhsa_user_sgpr_count 2
		.amdhsa_user_sgpr_dispatch_ptr 0
		.amdhsa_user_sgpr_queue_ptr 0
		.amdhsa_user_sgpr_kernarg_segment_ptr 1
		.amdhsa_user_sgpr_dispatch_id 0
		.amdhsa_user_sgpr_kernarg_preload_length 0
		.amdhsa_user_sgpr_kernarg_preload_offset 0
		.amdhsa_user_sgpr_private_segment_size 0
		.amdhsa_wavefront_size32 1
		.amdhsa_uses_dynamic_stack 0
		.amdhsa_enable_private_segment 0
		.amdhsa_system_sgpr_workgroup_id_x 1
		.amdhsa_system_sgpr_workgroup_id_y 0
		.amdhsa_system_sgpr_workgroup_id_z 0
		.amdhsa_system_sgpr_workgroup_info 0
		.amdhsa_system_vgpr_workitem_id 0
		.amdhsa_next_free_vgpr 22
		.amdhsa_next_free_sgpr 32
		.amdhsa_named_barrier_count 0
		.amdhsa_reserve_vcc 1
		.amdhsa_float_round_mode_32 0
		.amdhsa_float_round_mode_16_64 0
		.amdhsa_float_denorm_mode_32 3
		.amdhsa_float_denorm_mode_16_64 3
		.amdhsa_fp16_overflow 0
		.amdhsa_memory_ordered 1
		.amdhsa_forward_progress 1
		.amdhsa_inst_pref_size 28
		.amdhsa_round_robin_scheduling 0
		.amdhsa_exception_fp_ieee_invalid_op 0
		.amdhsa_exception_fp_denorm_src 0
		.amdhsa_exception_fp_ieee_div_zero 0
		.amdhsa_exception_fp_ieee_overflow 0
		.amdhsa_exception_fp_ieee_underflow 0
		.amdhsa_exception_fp_ieee_inexact 0
		.amdhsa_exception_int_div_zero 0
	.end_amdhsa_kernel
	.section	.text._Z13gqsort_kernelIjEvPT_S1_P12block_recordIS0_EP13parent_recordP11work_recordIS0_E,"axG",@progbits,_Z13gqsort_kernelIjEvPT_S1_P12block_recordIS0_EP13parent_recordP11work_recordIS0_E,comdat
.Lfunc_end0:
	.size	_Z13gqsort_kernelIjEvPT_S1_P12block_recordIS0_EP13parent_recordP11work_recordIS0_E, .Lfunc_end0-_Z13gqsort_kernelIjEvPT_S1_P12block_recordIS0_EP13parent_recordP11work_recordIS0_E
                                        ; -- End function
	.set _Z13gqsort_kernelIjEvPT_S1_P12block_recordIS0_EP13parent_recordP11work_recordIS0_E.num_vgpr, 22
	.set _Z13gqsort_kernelIjEvPT_S1_P12block_recordIS0_EP13parent_recordP11work_recordIS0_E.num_agpr, 0
	.set _Z13gqsort_kernelIjEvPT_S1_P12block_recordIS0_EP13parent_recordP11work_recordIS0_E.numbered_sgpr, 32
	.set _Z13gqsort_kernelIjEvPT_S1_P12block_recordIS0_EP13parent_recordP11work_recordIS0_E.num_named_barrier, 0
	.set _Z13gqsort_kernelIjEvPT_S1_P12block_recordIS0_EP13parent_recordP11work_recordIS0_E.private_seg_size, 0
	.set _Z13gqsort_kernelIjEvPT_S1_P12block_recordIS0_EP13parent_recordP11work_recordIS0_E.uses_vcc, 1
	.set _Z13gqsort_kernelIjEvPT_S1_P12block_recordIS0_EP13parent_recordP11work_recordIS0_E.uses_flat_scratch, 0
	.set _Z13gqsort_kernelIjEvPT_S1_P12block_recordIS0_EP13parent_recordP11work_recordIS0_E.has_dyn_sized_stack, 0
	.set _Z13gqsort_kernelIjEvPT_S1_P12block_recordIS0_EP13parent_recordP11work_recordIS0_E.has_recursion, 0
	.set _Z13gqsort_kernelIjEvPT_S1_P12block_recordIS0_EP13parent_recordP11work_recordIS0_E.has_indirect_call, 0
	.section	.AMDGPU.csdata,"",@progbits
; Kernel info:
; codeLenInByte = 3524
; TotalNumSgprs: 34
; NumVgprs: 22
; ScratchSize: 0
; MemoryBound: 0
; FloatMode: 240
; IeeeMode: 1
; LDSByteSize: 1048 bytes/workgroup (compile time only)
; SGPRBlocks: 0
; VGPRBlocks: 1
; NumSGPRsForWavesPerEU: 34
; NumVGPRsForWavesPerEU: 22
; NamedBarCnt: 0
; Occupancy: 16
; WaveLimiterHint : 1
; COMPUTE_PGM_RSRC2:SCRATCH_EN: 0
; COMPUTE_PGM_RSRC2:USER_SGPR: 2
; COMPUTE_PGM_RSRC2:TRAP_HANDLER: 0
; COMPUTE_PGM_RSRC2:TGID_X_EN: 1
; COMPUTE_PGM_RSRC2:TGID_Y_EN: 0
; COMPUTE_PGM_RSRC2:TGID_Z_EN: 0
; COMPUTE_PGM_RSRC2:TIDIG_COMP_CNT: 0
	.text
	.p2align	2                               ; -- Begin function _Z14sort_thresholdIjEvPT_S1_jjS1_j
	.type	_Z14sort_thresholdIjEvPT_S1_jjS1_j,@function
_Z14sort_thresholdIjEvPT_S1_jjS1_j:     ; @_Z14sort_thresholdIjEvPT_S1_jjS1_j
; %bb.0:
	s_wait_loadcnt_dscnt 0x0
	s_wait_kmcnt 0x0
	v_sub_nc_u32_e32 v5, v5, v4
	s_mov_b32 s0, exec_lo
	s_delay_alu instid0(VALU_DEP_1)
	v_cmpx_ne_u32_e32 0x100, v5
	s_xor_b32 s1, exec_lo, s0
	s_cbranch_execnz .LBB1_3
; %bb.1:
	s_and_not1_saveexec_b32 s0, s1
	s_cbranch_execnz .LBB1_18
.LBB1_2:
	s_or_b32 exec_lo, exec_lo, s0
	s_wait_dscnt 0x0
	s_set_pc_i64 s[30:31]
.LBB1_3:
	s_mov_b32 s0, exec_lo
	v_cmpx_gt_u32_e32 2, v5
	s_xor_b32 s2, exec_lo, s0
	s_cbranch_execz .LBB1_7
; %bb.4:
	v_cmp_eq_u32_e32 vcc_lo, 1, v5
	v_cmp_eq_u32_e64 s0, 0, v6
	s_and_b32 s3, vcc_lo, s0
	s_delay_alu instid0(SALU_CYCLE_1)
	s_and_saveexec_b32 s0, s3
	s_cbranch_execz .LBB1_6
; %bb.5:
	v_mov_b32_e32 v5, 0
	s_delay_alu instid0(VALU_DEP_1) | instskip(NEXT) | instid1(VALU_DEP_1)
	v_lshlrev_b64_e32 v[4:5], 2, v[4:5]
	v_add_nc_u64_e32 v[0:1], v[0:1], v[4:5]
	flat_load_b32 v6, v[0:1]
	s_wait_xcnt 0x0
	v_add_nc_u64_e32 v[0:1], v[2:3], v[4:5]
	s_wait_loadcnt_dscnt 0x0
	flat_store_b32 v[0:1], v6
.LBB1_6:
	s_wait_xcnt 0x0
	s_or_b32 exec_lo, exec_lo, s0
                                        ; implicit-def: $vgpr6
                                        ; implicit-def: $vgpr5
                                        ; implicit-def: $vgpr4
                                        ; implicit-def: $vgpr2_vgpr3
                                        ; implicit-def: $vgpr0_vgpr1
.LBB1_7:
	s_and_not1_saveexec_b32 s0, s2
	s_cbranch_execz .LBB1_17
; %bb.8:
	v_lshl_add_u32 v7, v6, 2, 0x3600
	s_mov_b32 s2, exec_lo
	v_cmpx_gt_u32_e32 0x100, v6
	s_cbranch_execz .LBB1_13
; %bb.9:
	v_lshl_add_u32 v10, v6, 2, 0x3600
	v_dual_mov_b32 v9, 0 :: v_dual_mov_b32 v11, v6
	s_mov_b32 s3, 0
	s_branch .LBB1_11
.LBB1_10:                               ;   in Loop: Header=BB1_11 Depth=1
	s_wait_xcnt 0x0
	s_or_b32 exec_lo, exec_lo, s4
	v_add_nc_u32_e32 v12, 0x80, v11
	v_cmp_lt_u32_e32 vcc_lo, 0x7f, v11
	s_wait_loadcnt_dscnt 0x0
	ds_store_b32 v10, v8
	v_dual_mov_b32 v11, v12 :: v_dual_add_nc_u32 v10, 0x200, v10
	s_or_b32 s3, vcc_lo, s3
	s_delay_alu instid0(SALU_CYCLE_1)
	s_and_not1_b32 exec_lo, exec_lo, s3
	s_cbranch_execz .LBB1_13
.LBB1_11:                               ; =>This Inner Loop Header: Depth=1
	v_mov_b32_e32 v8, -1
	s_mov_b32 s4, exec_lo
	v_cmpx_lt_u32_e64 v11, v5
	s_cbranch_execz .LBB1_10
; %bb.12:                               ;   in Loop: Header=BB1_11 Depth=1
	v_add_nc_u32_e32 v8, v4, v11
	s_delay_alu instid0(VALU_DEP_1)
	v_lshl_add_u64 v[12:13], v[8:9], 2, v[0:1]
	flat_load_b32 v8, v[12:13]
	s_branch .LBB1_10
.LBB1_13:
	s_or_b32 exec_lo, exec_lo, s2
	v_dual_lshlrev_b32 v0, 3, v6 :: v_dual_lshlrev_b32 v8, 1, v6
	s_wait_storecnt_dscnt 0x0
	s_barrier_signal -1
	s_barrier_wait -1
	ds_load_b64 v[10:11], v0 offset:13824
	s_mov_b32 s2, 0
	s_mov_b32 s3, exec_lo
	s_wait_dscnt 0x0
	v_max_u32_e32 v12, v10, v11
	v_min_u32_e32 v11, v10, v11
	v_and_b32_e32 v1, 1, v6
	s_delay_alu instid0(VALU_DEP_1) | instskip(NEXT) | instid1(VALU_DEP_3)
	v_cmp_eq_u32_e32 vcc_lo, 0, v1
	v_cndmask_b32_e32 v10, v12, v11, vcc_lo
	v_dual_sub_nc_u32 v9, v8, v1 :: v_dual_cndmask_b32 v11, v11, v12, vcc_lo
	s_delay_alu instid0(VALU_DEP_1)
	v_dual_lshlrev_b32 v1, 2, v9 :: v_dual_bitop2_b32 v9, 2, v6 bitop3:0x40
	ds_store_b64 v0, v[10:11] offset:13824
	s_wait_dscnt 0x0
	s_barrier_signal -1
	s_barrier_wait -1
	v_cmp_eq_u32_e32 vcc_lo, 0, v9
	v_add_nc_u32_e32 v1, 0x3400, v1
	ds_load_2addr_b32 v[10:11], v1 offset0:128 offset1:130
	s_wait_dscnt 0x0
	v_max_u32_e32 v12, v10, v11
	v_min_u32_e32 v10, v10, v11
	s_delay_alu instid0(VALU_DEP_1)
	v_dual_cndmask_b32 v9, v12, v10 :: v_dual_cndmask_b32 v10, v10, v12
	ds_store_2addr_b32 v1, v9, v10 offset0:128 offset1:130
	s_wait_dscnt 0x0
	s_barrier_signal -1
	s_barrier_wait -1
	ds_load_b64 v[10:11], v0 offset:13824
	s_wait_dscnt 0x0
	v_max_u32_e32 v12, v10, v11
	v_min_u32_e32 v11, v10, v11
	s_delay_alu instid0(VALU_DEP_1) | instskip(NEXT) | instid1(VALU_DEP_1)
	v_dual_cndmask_b32 v10, v12, v11, vcc_lo :: v_dual_bitop2_b32 v9, 3, v6 bitop3:0x40
	v_dual_cndmask_b32 v11, v11, v12, vcc_lo :: v_dual_sub_nc_u32 v9, v8, v9
	v_and_b32_e32 v12, 4, v6
	ds_store_b64 v0, v[10:11] offset:13824
	s_wait_dscnt 0x0
	v_cmp_eq_u32_e32 vcc_lo, 0, v12
	v_lshlrev_b32_e32 v9, 2, v9
	s_barrier_signal -1
	s_barrier_wait -1
	s_delay_alu instid0(VALU_DEP_1) | instskip(SKIP_4) | instid1(VALU_DEP_1)
	v_add_nc_u32_e32 v9, 0x3400, v9
	ds_load_2addr_b32 v[10:11], v9 offset0:128 offset1:132
	s_wait_dscnt 0x0
	v_max_u32_e32 v13, v10, v11
	v_min_u32_e32 v10, v10, v11
	v_dual_cndmask_b32 v11, v13, v10 :: v_dual_cndmask_b32 v10, v10, v13
	ds_store_2addr_b32 v9, v11, v10 offset0:128 offset1:132
	s_wait_dscnt 0x0
	s_barrier_signal -1
	s_barrier_wait -1
	ds_load_2addr_b32 v[10:11], v1 offset0:128 offset1:130
	s_wait_dscnt 0x0
	v_max_u32_e32 v12, v10, v11
	v_min_u32_e32 v10, v10, v11
	s_delay_alu instid0(VALU_DEP_1)
	v_dual_cndmask_b32 v11, v12, v10 :: v_dual_cndmask_b32 v10, v10, v12
	v_and_b32_e32 v12, 7, v6
	ds_store_2addr_b32 v1, v11, v10 offset0:128 offset1:130
	s_wait_dscnt 0x0
	s_barrier_signal -1
	s_barrier_wait -1
	ds_load_b64 v[10:11], v0 offset:13824
	s_wait_dscnt 0x0
	v_max_u32_e32 v13, v10, v11
	v_min_u32_e32 v10, v10, v11
	v_sub_nc_u32_e32 v12, v8, v12
	s_delay_alu instid0(VALU_DEP_1) | instskip(NEXT) | instid1(VALU_DEP_1)
	v_dual_cndmask_b32 v12, v13, v10 :: v_dual_lshlrev_b32 v11, 2, v12
	v_dual_cndmask_b32 v13, v10, v13 :: v_dual_add_nc_u32 v10, 0x3400, v11
	v_and_b32_e32 v11, 8, v6
	ds_store_b64 v0, v[12:13] offset:13824
	s_wait_dscnt 0x0
	s_barrier_signal -1
	s_barrier_wait -1
	ds_load_2addr_b32 v[12:13], v10 offset0:128 offset1:136
	v_cmp_eq_u32_e32 vcc_lo, 0, v11
	s_wait_dscnt 0x0
	v_max_u32_e32 v14, v12, v13
	v_min_u32_e32 v12, v12, v13
	s_delay_alu instid0(VALU_DEP_1)
	v_dual_cndmask_b32 v11, v14, v12 :: v_dual_cndmask_b32 v12, v12, v14
	ds_store_2addr_b32 v10, v11, v12 offset0:128 offset1:136
	s_wait_dscnt 0x0
	s_barrier_signal -1
	s_barrier_wait -1
	ds_load_2addr_b32 v[12:13], v9 offset0:128 offset1:132
	s_wait_dscnt 0x0
	v_max_u32_e32 v11, v12, v13
	v_min_u32_e32 v12, v12, v13
	s_delay_alu instid0(VALU_DEP_1)
	v_dual_cndmask_b32 v13, v11, v12, vcc_lo :: v_dual_cndmask_b32 v11, v12, v11, vcc_lo
	ds_store_2addr_b32 v9, v13, v11 offset0:128 offset1:132
	s_wait_dscnt 0x0
	s_barrier_signal -1
	s_barrier_wait -1
	ds_load_2addr_b32 v[12:13], v1 offset0:128 offset1:130
	s_wait_dscnt 0x0
	v_max_u32_e32 v11, v12, v13
	v_min_u32_e32 v12, v12, v13
	s_delay_alu instid0(VALU_DEP_1)
	v_dual_cndmask_b32 v13, v11, v12, vcc_lo :: v_dual_cndmask_b32 v11, v12, v11, vcc_lo
	ds_store_2addr_b32 v1, v13, v11 offset0:128 offset1:130
	s_wait_dscnt 0x0
	s_barrier_signal -1
	s_barrier_wait -1
	ds_load_b64 v[12:13], v0 offset:13824
	s_wait_dscnt 0x0
	v_max_u32_e32 v14, v12, v13
	v_min_u32_e32 v13, v12, v13
	s_delay_alu instid0(VALU_DEP_1)
	v_dual_cndmask_b32 v12, v14, v13 :: v_dual_cndmask_b32 v13, v13, v14
	v_and_b32_e32 v14, 16, v6
	ds_store_b64 v0, v[12:13] offset:13824
	v_cmp_eq_u32_e32 vcc_lo, 0, v14
	v_and_b32_e32 v11, 15, v6
	s_wait_dscnt 0x0
	s_barrier_signal -1
	s_barrier_wait -1
	s_delay_alu instid0(VALU_DEP_1) | instskip(NEXT) | instid1(VALU_DEP_1)
	v_sub_nc_u32_e32 v11, v8, v11
	v_lshlrev_b32_e32 v11, 2, v11
	s_delay_alu instid0(VALU_DEP_1) | instskip(SKIP_4) | instid1(VALU_DEP_1)
	v_add_nc_u32_e32 v11, 0x3400, v11
	ds_load_2addr_b32 v[12:13], v11 offset0:128 offset1:144
	s_wait_dscnt 0x0
	v_max_u32_e32 v15, v12, v13
	v_min_u32_e32 v12, v12, v13
	v_dual_cndmask_b32 v13, v15, v12 :: v_dual_cndmask_b32 v12, v12, v15
	ds_store_2addr_b32 v11, v13, v12 offset0:128 offset1:144
	s_wait_dscnt 0x0
	s_barrier_signal -1
	s_barrier_wait -1
	ds_load_2addr_b32 v[12:13], v10 offset0:128 offset1:136
	s_wait_dscnt 0x0
	v_max_u32_e32 v14, v12, v13
	v_min_u32_e32 v12, v12, v13
	s_delay_alu instid0(VALU_DEP_1)
	v_dual_cndmask_b32 v13, v14, v12 :: v_dual_cndmask_b32 v12, v12, v14
	ds_store_2addr_b32 v10, v13, v12 offset0:128 offset1:136
	s_wait_dscnt 0x0
	s_barrier_signal -1
	s_barrier_wait -1
	ds_load_2addr_b32 v[12:13], v9 offset0:128 offset1:132
	s_wait_dscnt 0x0
	v_max_u32_e32 v14, v12, v13
	v_min_u32_e32 v12, v12, v13
	s_delay_alu instid0(VALU_DEP_1)
	;; [unrolled: 10-line block ×3, first 2 shown]
	v_dual_cndmask_b32 v13, v14, v12 :: v_dual_cndmask_b32 v12, v12, v14
	v_and_b32_e32 v14, 31, v6
	ds_store_2addr_b32 v1, v13, v12 offset0:128 offset1:130
	s_wait_dscnt 0x0
	s_barrier_signal -1
	s_barrier_wait -1
	ds_load_b64 v[12:13], v0 offset:13824
	s_wait_dscnt 0x0
	v_max_u32_e32 v15, v12, v13
	v_min_u32_e32 v13, v12, v13
	s_delay_alu instid0(VALU_DEP_1)
	v_dual_sub_nc_u32 v14, v8, v14 :: v_dual_cndmask_b32 v12, v15, v13, vcc_lo
	v_dual_cndmask_b32 v13, v13, v15, vcc_lo :: v_dual_bitop2_b32 v15, 32, v6 bitop3:0x40
	ds_store_b64 v0, v[12:13] offset:13824
	v_cmp_eq_u32_e32 vcc_lo, 0, v15
	v_lshlrev_b32_e32 v14, 2, v14
	s_wait_dscnt 0x0
	s_barrier_signal -1
	s_barrier_wait -1
	s_delay_alu instid0(VALU_DEP_1) | instskip(SKIP_4) | instid1(VALU_DEP_1)
	v_add_nc_u32_e32 v14, 0x3400, v14
	ds_load_2addr_b32 v[12:13], v14 offset0:128 offset1:160
	s_wait_dscnt 0x0
	v_max_u32_e32 v16, v12, v13
	v_min_u32_e32 v12, v12, v13
	v_cndmask_b32_e32 v13, v16, v12, vcc_lo
	v_cndmask_b32_e32 v12, v12, v16, vcc_lo
	ds_store_2addr_b32 v14, v13, v12 offset0:128 offset1:160
	s_wait_dscnt 0x0
	s_barrier_signal -1
	s_barrier_wait -1
	ds_load_2addr_b32 v[12:13], v11 offset0:128 offset1:144
	s_wait_dscnt 0x0
	v_max_u32_e32 v15, v12, v13
	v_min_u32_e32 v12, v12, v13
	s_delay_alu instid0(VALU_DEP_1)
	v_dual_cndmask_b32 v13, v15, v12 :: v_dual_cndmask_b32 v12, v12, v15
	ds_store_2addr_b32 v11, v13, v12 offset0:128 offset1:144
	s_wait_dscnt 0x0
	s_barrier_signal -1
	s_barrier_wait -1
	ds_load_2addr_b32 v[12:13], v10 offset0:128 offset1:136
	s_wait_dscnt 0x0
	v_max_u32_e32 v15, v12, v13
	v_min_u32_e32 v12, v12, v13
	s_delay_alu instid0(VALU_DEP_1)
	v_dual_cndmask_b32 v13, v15, v12 :: v_dual_cndmask_b32 v12, v12, v15
	;; [unrolled: 10-line block ×4, first 2 shown]
	v_and_b32_e32 v15, 63, v6
	ds_store_2addr_b32 v1, v13, v12 offset0:128 offset1:130
	s_wait_dscnt 0x0
	s_barrier_signal -1
	s_barrier_wait -1
	ds_load_b64 v[12:13], v0 offset:13824
	s_wait_dscnt 0x0
	v_max_u32_e32 v16, v12, v13
	v_min_u32_e32 v13, v12, v13
	v_sub_nc_u32_e32 v15, v8, v15
	s_delay_alu instid0(VALU_DEP_2) | instskip(NEXT) | instid1(VALU_DEP_2)
	v_dual_cndmask_b32 v12, v16, v13 :: v_dual_cndmask_b32 v13, v13, v16
	v_lshlrev_b32_e32 v15, 2, v15
	ds_store_b64 v0, v[12:13] offset:13824
	s_wait_dscnt 0x0
	s_barrier_signal -1
	s_barrier_wait -1
	ds_load_2addr_stride64_b32 v[12:13], v15 offset0:54 offset1:55
	s_wait_dscnt 0x0
	v_max_u32_e32 v17, v12, v13
	v_min_u32_e32 v12, v12, v13
	v_and_b32_e32 v16, 64, v6
	s_delay_alu instid0(VALU_DEP_1) | instskip(NEXT) | instid1(VALU_DEP_3)
	v_cmp_eq_u32_e32 vcc_lo, 0, v16
	v_dual_cndmask_b32 v13, v17, v12 :: v_dual_cndmask_b32 v12, v12, v17
	ds_store_2addr_stride64_b32 v15, v13, v12 offset0:54 offset1:55
	s_wait_dscnt 0x0
	s_barrier_signal -1
	s_barrier_wait -1
	ds_load_2addr_b32 v[12:13], v14 offset0:128 offset1:160
	s_wait_dscnt 0x0
	v_max_u32_e32 v16, v12, v13
	v_min_u32_e32 v12, v12, v13
	s_delay_alu instid0(VALU_DEP_1)
	v_cndmask_b32_e32 v13, v16, v12, vcc_lo
	v_cndmask_b32_e32 v12, v12, v16, vcc_lo
	ds_store_2addr_b32 v14, v13, v12 offset0:128 offset1:160
	s_wait_dscnt 0x0
	s_barrier_signal -1
	s_barrier_wait -1
	ds_load_2addr_b32 v[12:13], v11 offset0:128 offset1:144
	s_wait_dscnt 0x0
	v_max_u32_e32 v16, v12, v13
	v_min_u32_e32 v12, v12, v13
	s_delay_alu instid0(VALU_DEP_1)
	v_cndmask_b32_e32 v13, v16, v12, vcc_lo
	v_cndmask_b32_e32 v12, v12, v16, vcc_lo
	ds_store_2addr_b32 v11, v13, v12 offset0:128 offset1:144
	;; [unrolled: 11-line block ×4, first 2 shown]
	s_wait_dscnt 0x0
	s_barrier_signal -1
	s_barrier_wait -1
	ds_load_2addr_b32 v[12:13], v1 offset0:128 offset1:130
	s_wait_dscnt 0x0
	v_max_u32_e32 v16, v12, v13
	v_min_u32_e32 v12, v12, v13
	s_delay_alu instid0(VALU_DEP_1)
	v_cndmask_b32_e32 v13, v16, v12, vcc_lo
	v_cndmask_b32_e32 v12, v12, v16, vcc_lo
	v_and_b32_e32 v16, 0x7f, v6
	ds_store_2addr_b32 v1, v13, v12 offset0:128 offset1:130
	s_wait_dscnt 0x0
	s_barrier_signal -1
	s_barrier_wait -1
	ds_load_b64 v[12:13], v0 offset:13824
	s_wait_dscnt 0x0
	v_max_u32_e32 v17, v12, v13
	v_min_u32_e32 v13, v12, v13
	s_delay_alu instid0(VALU_DEP_1) | instskip(NEXT) | instid1(VALU_DEP_1)
	v_dual_sub_nc_u32 v8, v8, v16 :: v_dual_cndmask_b32 v12, v17, v13, vcc_lo
	v_dual_cndmask_b32 v13, v13, v17 :: v_dual_lshlrev_b32 v8, 2, v8
	ds_store_b64 v0, v[12:13] offset:13824
	s_wait_dscnt 0x0
	s_barrier_signal -1
	s_barrier_wait -1
	ds_load_2addr_stride64_b32 v[12:13], v8 offset0:54 offset1:56
	s_wait_dscnt 0x0
	v_min_u32_e32 v16, v12, v13
	v_max_u32_e32 v12, v12, v13
	ds_store_2addr_stride64_b32 v8, v16, v12 offset0:54 offset1:56
	s_wait_dscnt 0x0
	s_barrier_signal -1
	s_barrier_wait -1
	ds_load_2addr_stride64_b32 v[12:13], v15 offset0:54 offset1:55
	s_wait_dscnt 0x0
	v_min_u32_e32 v8, v12, v13
	v_max_u32_e32 v12, v12, v13
	ds_store_2addr_stride64_b32 v15, v8, v12 offset0:54 offset1:55
	s_wait_dscnt 0x0
	s_barrier_signal -1
	s_barrier_wait -1
	ds_load_2addr_b32 v[12:13], v14 offset0:128 offset1:160
	s_wait_dscnt 0x0
	v_min_u32_e32 v8, v12, v13
	v_max_u32_e32 v12, v12, v13
	ds_store_2addr_b32 v14, v8, v12 offset0:128 offset1:160
	s_wait_dscnt 0x0
	s_barrier_signal -1
	s_barrier_wait -1
	ds_load_2addr_b32 v[12:13], v11 offset0:128 offset1:144
	s_wait_dscnt 0x0
	v_min_u32_e32 v8, v12, v13
	v_max_u32_e32 v12, v12, v13
	ds_store_2addr_b32 v11, v8, v12 offset0:128 offset1:144
	;; [unrolled: 8-line block ×5, first 2 shown]
	s_wait_dscnt 0x0
	s_barrier_signal -1
	s_barrier_wait -1
	ds_load_b64 v[8:9], v0 offset:13824
	s_wait_dscnt 0x0
	v_min_u32_e32 v10, v8, v9
	v_max_u32_e32 v11, v8, v9
	ds_store_b64 v0, v[10:11] offset:13824
	s_wait_dscnt 0x0
	s_barrier_signal -1
	s_barrier_wait -1
	v_cmpx_lt_u32_e64 v6, v5
	s_cbranch_execz .LBB1_16
; %bb.14:
	v_mov_b32_e32 v1, 0
.LBB1_15:                               ; =>This Inner Loop Header: Depth=1
	ds_load_b32 v10, v7
	v_add_nc_u32_e32 v0, v4, v6
	v_add_nc_u32_e32 v6, 0x80, v6
	v_add_nc_u32_e32 v7, 0x200, v7
	s_delay_alu instid0(VALU_DEP_3) | instskip(NEXT) | instid1(VALU_DEP_3)
	v_lshl_add_u64 v[8:9], v[0:1], 2, v[2:3]
	v_cmp_ge_u32_e32 vcc_lo, v6, v5
	s_or_b32 s2, vcc_lo, s2
	s_wait_dscnt 0x0
	flat_store_b32 v[8:9], v10
	s_wait_xcnt 0x0
	s_and_not1_b32 exec_lo, exec_lo, s2
	s_cbranch_execnz .LBB1_15
.LBB1_16:
	s_or_b32 exec_lo, exec_lo, s3
.LBB1_17:
	s_delay_alu instid0(SALU_CYCLE_1)
	s_or_b32 exec_lo, exec_lo, s0
                                        ; implicit-def: $vgpr4
                                        ; implicit-def: $vgpr0_vgpr1
                                        ; implicit-def: $vgpr6
                                        ; implicit-def: $vgpr2_vgpr3
	s_and_not1_saveexec_b32 s0, s1
	s_cbranch_execz .LBB1_2
.LBB1_18:
	v_dual_mov_b32 v9, 0 :: v_dual_lshlrev_b32 v8, 1, v6
	s_mov_b32 s1, 0
	s_mov_b32 s2, exec_lo
	s_delay_alu instid0(VALU_DEP_1) | instskip(SKIP_2) | instid1(VALU_DEP_3)
	v_dual_mov_b32 v5, v9 :: v_dual_mov_b32 v15, v9
	v_dual_mov_b32 v21, v9 :: v_dual_mov_b32 v25, v9
	v_mov_b32_e32 v29, v9
	v_lshl_add_u64 v[16:17], v[4:5], 2, v[0:1]
	v_dual_mov_b32 v33, v9 :: v_dual_mov_b32 v37, v9
	s_delay_alu instid0(VALU_DEP_2)
	v_lshl_add_u64 v[10:11], v[8:9], 2, v[16:17]
	flat_load_b64 v[12:13], v[10:11]
	s_wait_loadcnt_dscnt 0x0
	v_max_u32_e32 v7, v12, v13
	v_min_u32_e32 v19, v12, v13
	v_and_b32_e32 v5, 1, v6
	s_delay_alu instid0(VALU_DEP_1) | instskip(NEXT) | instid1(VALU_DEP_3)
	v_cmp_eq_u32_e32 vcc_lo, 0, v5
	v_dual_cndmask_b32 v18, v7, v19, vcc_lo :: v_dual_sub_nc_u32 v14, v8, v5
	v_cndmask_b32_e32 v19, v19, v7, vcc_lo
	s_delay_alu instid0(VALU_DEP_2)
	v_lshl_add_u64 v[12:13], v[14:15], 2, v[16:17]
	flat_store_b64 v[10:11], v[18:19]
	s_wait_xcnt 0x0
	v_and_b32_e32 v18, 2, v6
	s_wait_storecnt_dscnt 0x0
	s_barrier_signal -1
	s_barrier_wait -1
	s_delay_alu instid0(VALU_DEP_1) | instskip(SKIP_1) | instid1(VALU_DEP_1)
	v_cmp_eq_u32_e32 vcc_lo, 0, v18
	v_ashrrev_i32_e32 v15, 31, v14
	v_lshl_add_u64 v[14:15], v[14:15], 2, v[16:17]
	s_clause 0x1
	flat_load_b32 v5, v[12:13]
	flat_load_b32 v7, v[14:15] offset:8
	s_wait_loadcnt_dscnt 0x0
	v_max_u32_e32 v19, v5, v7
	v_min_u32_e32 v5, v5, v7
	s_delay_alu instid0(VALU_DEP_1)
	v_dual_cndmask_b32 v7, v19, v5, vcc_lo :: v_dual_cndmask_b32 v5, v5, v19, vcc_lo
	s_clause 0x1
	flat_store_b32 v[12:13], v7
	flat_store_b32 v[14:15], v5 offset:8
	s_wait_storecnt_dscnt 0x0
	s_barrier_signal -1
	s_barrier_wait -1
	flat_load_b64 v[18:19], v[10:11]
	s_wait_xcnt 0x1
	v_and_b32_e32 v5, 3, v6
	s_wait_loadcnt_dscnt 0x0
	v_min_u32_e32 v7, v18, v19
	s_delay_alu instid0(VALU_DEP_2) | instskip(SKIP_1) | instid1(VALU_DEP_1)
	v_sub_nc_u32_e32 v20, v8, v5
	v_max_u32_e32 v5, v18, v19
	v_cndmask_b32_e32 v22, v5, v7, vcc_lo
	s_delay_alu instid0(VALU_DEP_3) | instskip(SKIP_1) | instid1(VALU_DEP_1)
	v_lshl_add_u64 v[18:19], v[20:21], 2, v[16:17]
	v_dual_ashrrev_i32 v21, 31, v20 :: v_dual_cndmask_b32 v23, v7, v5, vcc_lo
	v_lshl_add_u64 v[20:21], v[20:21], 2, v[16:17]
	flat_store_b64 v[10:11], v[22:23]
	s_wait_storecnt_dscnt 0x0
	s_barrier_signal -1
	s_barrier_wait -1
	s_clause 0x1
	flat_load_b32 v5, v[18:19]
	flat_load_b32 v7, v[20:21] offset:16
	s_wait_loadcnt_dscnt 0x0
	v_max_u32_e32 v23, v5, v7
	v_min_u32_e32 v5, v5, v7
	v_and_b32_e32 v22, 4, v6
	s_delay_alu instid0(VALU_DEP_1) | instskip(NEXT) | instid1(VALU_DEP_3)
	v_cmp_eq_u32_e32 vcc_lo, 0, v22
	v_dual_cndmask_b32 v7, v23, v5, vcc_lo :: v_dual_cndmask_b32 v5, v5, v23, vcc_lo
	s_clause 0x1
	flat_store_b32 v[18:19], v7
	flat_store_b32 v[20:21], v5 offset:16
	s_wait_storecnt_dscnt 0x0
	s_barrier_signal -1
	s_barrier_wait -1
	s_clause 0x1
	flat_load_b32 v5, v[12:13]
	flat_load_b32 v7, v[14:15] offset:8
	s_wait_loadcnt_dscnt 0x0
	v_max_u32_e32 v22, v5, v7
	v_min_u32_e32 v5, v5, v7
	s_delay_alu instid0(VALU_DEP_1)
	v_dual_cndmask_b32 v7, v22, v5, vcc_lo :: v_dual_cndmask_b32 v5, v5, v22, vcc_lo
	s_clause 0x1
	flat_store_b32 v[12:13], v7
	flat_store_b32 v[14:15], v5 offset:8
	s_wait_storecnt_dscnt 0x0
	s_barrier_signal -1
	s_barrier_wait -1
	flat_load_b64 v[22:23], v[10:11]
	s_wait_xcnt 0x1
	v_and_b32_e32 v5, 7, v6
	s_wait_loadcnt_dscnt 0x0
	v_min_u32_e32 v7, v22, v23
	s_delay_alu instid0(VALU_DEP_2) | instskip(SKIP_1) | instid1(VALU_DEP_1)
	v_sub_nc_u32_e32 v24, v8, v5
	v_max_u32_e32 v5, v22, v23
	v_cndmask_b32_e32 v26, v5, v7, vcc_lo
	s_delay_alu instid0(VALU_DEP_3) | instskip(SKIP_1) | instid1(VALU_DEP_1)
	v_lshl_add_u64 v[22:23], v[24:25], 2, v[16:17]
	v_dual_ashrrev_i32 v25, 31, v24 :: v_dual_cndmask_b32 v27, v7, v5, vcc_lo
	v_lshl_add_u64 v[24:25], v[24:25], 2, v[16:17]
	flat_store_b64 v[10:11], v[26:27]
	s_wait_storecnt_dscnt 0x0
	s_barrier_signal -1
	s_barrier_wait -1
	s_clause 0x1
	flat_load_b32 v5, v[22:23]
	flat_load_b32 v7, v[24:25] offset:32
	s_wait_xcnt 0x2
	v_and_b32_e32 v26, 8, v6
	s_delay_alu instid0(VALU_DEP_1) | instskip(SKIP_3) | instid1(VALU_DEP_1)
	v_cmp_eq_u32_e32 vcc_lo, 0, v26
	s_wait_loadcnt_dscnt 0x0
	v_max_u32_e32 v27, v5, v7
	v_min_u32_e32 v5, v5, v7
	v_dual_cndmask_b32 v7, v27, v5, vcc_lo :: v_dual_cndmask_b32 v5, v5, v27, vcc_lo
	s_clause 0x1
	flat_store_b32 v[22:23], v7
	flat_store_b32 v[24:25], v5 offset:32
	s_wait_storecnt_dscnt 0x0
	s_barrier_signal -1
	s_barrier_wait -1
	s_clause 0x1
	flat_load_b32 v5, v[18:19]
	flat_load_b32 v7, v[20:21] offset:16
	s_wait_loadcnt_dscnt 0x0
	v_max_u32_e32 v26, v5, v7
	v_min_u32_e32 v5, v5, v7
	s_delay_alu instid0(VALU_DEP_1)
	v_dual_cndmask_b32 v7, v26, v5, vcc_lo :: v_dual_cndmask_b32 v5, v5, v26, vcc_lo
	s_clause 0x1
	flat_store_b32 v[18:19], v7
	flat_store_b32 v[20:21], v5 offset:16
	s_wait_storecnt_dscnt 0x0
	s_barrier_signal -1
	s_barrier_wait -1
	s_clause 0x1
	flat_load_b32 v5, v[12:13]
	flat_load_b32 v7, v[14:15] offset:8
	s_wait_loadcnt_dscnt 0x0
	v_max_u32_e32 v26, v5, v7
	v_min_u32_e32 v5, v5, v7
	s_delay_alu instid0(VALU_DEP_1)
	v_dual_cndmask_b32 v7, v26, v5, vcc_lo :: v_dual_cndmask_b32 v5, v5, v26, vcc_lo
	s_clause 0x1
	flat_store_b32 v[12:13], v7
	flat_store_b32 v[14:15], v5 offset:8
	s_wait_storecnt_dscnt 0x0
	s_barrier_signal -1
	s_barrier_wait -1
	flat_load_b64 v[26:27], v[10:11]
	s_wait_xcnt 0x1
	v_and_b32_e32 v5, 15, v6
	s_wait_loadcnt_dscnt 0x0
	v_min_u32_e32 v7, v26, v27
	s_delay_alu instid0(VALU_DEP_2) | instskip(SKIP_1) | instid1(VALU_DEP_1)
	v_sub_nc_u32_e32 v28, v8, v5
	v_max_u32_e32 v5, v26, v27
	v_cndmask_b32_e32 v30, v5, v7, vcc_lo
	s_delay_alu instid0(VALU_DEP_3) | instskip(SKIP_1) | instid1(VALU_DEP_1)
	v_lshl_add_u64 v[26:27], v[28:29], 2, v[16:17]
	v_dual_ashrrev_i32 v29, 31, v28 :: v_dual_cndmask_b32 v31, v7, v5, vcc_lo
	v_lshl_add_u64 v[28:29], v[28:29], 2, v[16:17]
	flat_store_b64 v[10:11], v[30:31]
	s_wait_storecnt_dscnt 0x0
	s_barrier_signal -1
	s_barrier_wait -1
	s_clause 0x1
	flat_load_b32 v5, v[26:27]
	flat_load_b32 v7, v[28:29] offset:64
	s_wait_loadcnt_dscnt 0x0
	v_max_u32_e32 v31, v5, v7
	v_min_u32_e32 v5, v5, v7
	v_and_b32_e32 v30, 16, v6
	s_delay_alu instid0(VALU_DEP_1) | instskip(NEXT) | instid1(VALU_DEP_3)
	v_cmp_eq_u32_e32 vcc_lo, 0, v30
	v_dual_cndmask_b32 v7, v31, v5, vcc_lo :: v_dual_cndmask_b32 v5, v5, v31, vcc_lo
	s_clause 0x1
	flat_store_b32 v[26:27], v7
	flat_store_b32 v[28:29], v5 offset:64
	s_wait_storecnt_dscnt 0x0
	s_barrier_signal -1
	s_barrier_wait -1
	s_clause 0x1
	flat_load_b32 v5, v[22:23]
	flat_load_b32 v7, v[24:25] offset:32
	s_wait_loadcnt_dscnt 0x0
	v_max_u32_e32 v30, v5, v7
	v_min_u32_e32 v5, v5, v7
	s_delay_alu instid0(VALU_DEP_1)
	v_dual_cndmask_b32 v7, v30, v5, vcc_lo :: v_dual_cndmask_b32 v5, v5, v30, vcc_lo
	s_clause 0x1
	flat_store_b32 v[22:23], v7
	flat_store_b32 v[24:25], v5 offset:32
	s_wait_storecnt_dscnt 0x0
	s_barrier_signal -1
	s_barrier_wait -1
	s_clause 0x1
	flat_load_b32 v5, v[18:19]
	flat_load_b32 v7, v[20:21] offset:16
	s_wait_loadcnt_dscnt 0x0
	v_max_u32_e32 v30, v5, v7
	v_min_u32_e32 v5, v5, v7
	s_delay_alu instid0(VALU_DEP_1)
	;; [unrolled: 14-line block ×3, first 2 shown]
	v_dual_cndmask_b32 v7, v30, v5, vcc_lo :: v_dual_cndmask_b32 v5, v5, v30, vcc_lo
	s_clause 0x1
	flat_store_b32 v[12:13], v7
	flat_store_b32 v[14:15], v5 offset:8
	s_wait_storecnt_dscnt 0x0
	s_barrier_signal -1
	s_barrier_wait -1
	flat_load_b64 v[30:31], v[10:11]
	s_wait_xcnt 0x1
	v_and_b32_e32 v5, 31, v6
	s_wait_loadcnt_dscnt 0x0
	v_min_u32_e32 v7, v30, v31
	s_delay_alu instid0(VALU_DEP_2) | instskip(SKIP_1) | instid1(VALU_DEP_1)
	v_sub_nc_u32_e32 v32, v8, v5
	v_max_u32_e32 v5, v30, v31
	v_cndmask_b32_e32 v34, v5, v7, vcc_lo
	s_delay_alu instid0(VALU_DEP_3) | instskip(SKIP_1) | instid1(VALU_DEP_1)
	v_lshl_add_u64 v[30:31], v[32:33], 2, v[16:17]
	v_dual_ashrrev_i32 v33, 31, v32 :: v_dual_cndmask_b32 v35, v7, v5, vcc_lo
	v_lshl_add_u64 v[32:33], v[32:33], 2, v[16:17]
	flat_store_b64 v[10:11], v[34:35]
	s_wait_storecnt_dscnt 0x0
	s_barrier_signal -1
	s_barrier_wait -1
	s_clause 0x1
	flat_load_b32 v5, v[30:31]
	flat_load_b32 v7, v[32:33] offset:128
	s_wait_xcnt 0x2
	v_and_b32_e32 v34, 32, v6
	s_delay_alu instid0(VALU_DEP_1) | instskip(SKIP_3) | instid1(VALU_DEP_1)
	v_cmp_eq_u32_e32 vcc_lo, 0, v34
	s_wait_loadcnt_dscnt 0x0
	v_max_u32_e32 v35, v5, v7
	v_min_u32_e32 v5, v5, v7
	v_dual_cndmask_b32 v7, v35, v5, vcc_lo :: v_dual_cndmask_b32 v5, v5, v35, vcc_lo
	s_clause 0x1
	flat_store_b32 v[30:31], v7
	flat_store_b32 v[32:33], v5 offset:128
	s_wait_storecnt_dscnt 0x0
	s_barrier_signal -1
	s_barrier_wait -1
	s_clause 0x1
	flat_load_b32 v5, v[26:27]
	flat_load_b32 v7, v[28:29] offset:64
	s_wait_loadcnt_dscnt 0x0
	v_max_u32_e32 v34, v5, v7
	v_min_u32_e32 v5, v5, v7
	s_delay_alu instid0(VALU_DEP_1)
	v_dual_cndmask_b32 v7, v34, v5, vcc_lo :: v_dual_cndmask_b32 v5, v5, v34, vcc_lo
	s_clause 0x1
	flat_store_b32 v[26:27], v7
	flat_store_b32 v[28:29], v5 offset:64
	s_wait_storecnt_dscnt 0x0
	s_barrier_signal -1
	s_barrier_wait -1
	s_clause 0x1
	flat_load_b32 v5, v[22:23]
	flat_load_b32 v7, v[24:25] offset:32
	s_wait_loadcnt_dscnt 0x0
	v_max_u32_e32 v34, v5, v7
	v_min_u32_e32 v5, v5, v7
	s_delay_alu instid0(VALU_DEP_1)
	;; [unrolled: 14-line block ×4, first 2 shown]
	v_dual_cndmask_b32 v7, v34, v5, vcc_lo :: v_dual_cndmask_b32 v5, v5, v34, vcc_lo
	s_clause 0x1
	flat_store_b32 v[12:13], v7
	flat_store_b32 v[14:15], v5 offset:8
	s_wait_storecnt_dscnt 0x0
	s_barrier_signal -1
	s_barrier_wait -1
	flat_load_b64 v[34:35], v[10:11]
	s_wait_xcnt 0x1
	v_and_b32_e32 v5, 63, v6
	s_wait_loadcnt_dscnt 0x0
	v_min_u32_e32 v7, v34, v35
	s_delay_alu instid0(VALU_DEP_2) | instskip(SKIP_1) | instid1(VALU_DEP_1)
	v_sub_nc_u32_e32 v36, v8, v5
	v_max_u32_e32 v5, v34, v35
	v_cndmask_b32_e32 v38, v5, v7, vcc_lo
	s_delay_alu instid0(VALU_DEP_3) | instskip(SKIP_1) | instid1(VALU_DEP_1)
	v_lshl_add_u64 v[34:35], v[36:37], 2, v[16:17]
	v_dual_ashrrev_i32 v37, 31, v36 :: v_dual_cndmask_b32 v39, v7, v5, vcc_lo
	v_lshl_add_u64 v[36:37], v[36:37], 2, v[16:17]
	flat_store_b64 v[10:11], v[38:39]
	s_wait_storecnt_dscnt 0x0
	s_barrier_signal -1
	s_barrier_wait -1
	s_clause 0x1
	flat_load_b32 v5, v[34:35]
	flat_load_b32 v7, v[36:37] offset:256
	s_wait_loadcnt_dscnt 0x0
	v_max_u32_e32 v39, v5, v7
	v_min_u32_e32 v5, v5, v7
	v_and_b32_e32 v38, 64, v6
	s_delay_alu instid0(VALU_DEP_1) | instskip(NEXT) | instid1(VALU_DEP_3)
	v_cmp_eq_u32_e32 vcc_lo, 0, v38
	v_dual_cndmask_b32 v7, v39, v5, vcc_lo :: v_dual_cndmask_b32 v5, v5, v39, vcc_lo
	s_clause 0x1
	flat_store_b32 v[34:35], v7
	flat_store_b32 v[36:37], v5 offset:256
	s_wait_storecnt_dscnt 0x0
	s_barrier_signal -1
	s_barrier_wait -1
	s_clause 0x1
	flat_load_b32 v5, v[30:31]
	flat_load_b32 v7, v[32:33] offset:128
	s_wait_loadcnt_dscnt 0x0
	v_max_u32_e32 v38, v5, v7
	v_min_u32_e32 v5, v5, v7
	s_delay_alu instid0(VALU_DEP_1)
	v_dual_cndmask_b32 v7, v38, v5, vcc_lo :: v_dual_cndmask_b32 v5, v5, v38, vcc_lo
	s_clause 0x1
	flat_store_b32 v[30:31], v7
	flat_store_b32 v[32:33], v5 offset:128
	s_wait_storecnt_dscnt 0x0
	s_barrier_signal -1
	s_barrier_wait -1
	s_clause 0x1
	flat_load_b32 v5, v[26:27]
	flat_load_b32 v7, v[28:29] offset:64
	s_wait_loadcnt_dscnt 0x0
	v_max_u32_e32 v38, v5, v7
	v_min_u32_e32 v5, v5, v7
	s_delay_alu instid0(VALU_DEP_1)
	v_dual_cndmask_b32 v7, v38, v5, vcc_lo :: v_dual_cndmask_b32 v5, v5, v38, vcc_lo
	s_clause 0x1
	flat_store_b32 v[26:27], v7
	flat_store_b32 v[28:29], v5 offset:64
	s_wait_storecnt_dscnt 0x0
	s_barrier_signal -1
	s_barrier_wait -1
	s_clause 0x1
	flat_load_b32 v5, v[22:23]
	flat_load_b32 v7, v[24:25] offset:32
	s_wait_loadcnt_dscnt 0x0
	v_max_u32_e32 v38, v5, v7
	v_min_u32_e32 v5, v5, v7
	s_delay_alu instid0(VALU_DEP_1)
	v_dual_cndmask_b32 v7, v38, v5, vcc_lo :: v_dual_cndmask_b32 v5, v5, v38, vcc_lo
	s_clause 0x1
	flat_store_b32 v[22:23], v7
	flat_store_b32 v[24:25], v5 offset:32
	s_wait_storecnt_dscnt 0x0
	s_barrier_signal -1
	s_barrier_wait -1
	s_clause 0x1
	flat_load_b32 v5, v[18:19]
	flat_load_b32 v7, v[20:21] offset:16
	s_wait_loadcnt_dscnt 0x0
	v_max_u32_e32 v38, v5, v7
	v_min_u32_e32 v5, v5, v7
	s_delay_alu instid0(VALU_DEP_1)
	v_dual_cndmask_b32 v7, v38, v5, vcc_lo :: v_dual_cndmask_b32 v5, v5, v38, vcc_lo
	s_clause 0x1
	flat_store_b32 v[18:19], v7
	flat_store_b32 v[20:21], v5 offset:16
	s_wait_storecnt_dscnt 0x0
	s_barrier_signal -1
	s_barrier_wait -1
	s_clause 0x1
	flat_load_b32 v5, v[12:13]
	flat_load_b32 v7, v[14:15] offset:8
	s_wait_loadcnt_dscnt 0x0
	v_max_u32_e32 v38, v5, v7
	v_min_u32_e32 v5, v5, v7
	s_delay_alu instid0(VALU_DEP_1)
	v_dual_cndmask_b32 v7, v38, v5, vcc_lo :: v_dual_cndmask_b32 v5, v5, v38, vcc_lo
	s_clause 0x1
	flat_store_b32 v[12:13], v7
	flat_store_b32 v[14:15], v5 offset:8
	s_wait_storecnt_dscnt 0x0
	s_barrier_signal -1
	s_barrier_wait -1
	flat_load_b64 v[38:39], v[10:11]
	s_wait_xcnt 0x1
	v_and_b32_e32 v5, 0x7f, v6
	s_wait_loadcnt_dscnt 0x0
	v_min_u32_e32 v7, v38, v39
	s_delay_alu instid0(VALU_DEP_2) | instskip(SKIP_1) | instid1(VALU_DEP_1)
	v_sub_nc_u32_e32 v8, v8, v5
	v_max_u32_e32 v5, v38, v39
	v_dual_cndmask_b32 v48, v5, v7 :: v_dual_ashrrev_i32 v39, 31, v8
	v_dual_mov_b32 v38, v8 :: v_dual_cndmask_b32 v49, v7, v5
	v_lshl_add_u64 v[50:51], v[8:9], 2, v[16:17]
	s_delay_alu instid0(VALU_DEP_2)
	v_lshl_add_u64 v[16:17], v[38:39], 2, v[16:17]
	flat_store_b64 v[10:11], v[48:49]
	s_wait_storecnt_dscnt 0x0
	s_barrier_signal -1
	s_barrier_wait -1
	s_clause 0x1
	flat_load_b32 v5, v[50:51]
	flat_load_b32 v7, v[16:17] offset:512
	s_wait_loadcnt_dscnt 0x0
	v_min_u32_e32 v8, v5, v7
	v_max_u32_e32 v5, v5, v7
	s_clause 0x1
	flat_store_b32 v[50:51], v8
	flat_store_b32 v[16:17], v5 offset:512
	s_wait_storecnt_dscnt 0x0
	s_barrier_signal -1
	s_barrier_wait -1
	s_clause 0x1
	flat_load_b32 v5, v[34:35]
	flat_load_b32 v7, v[36:37] offset:256
	s_wait_loadcnt_dscnt 0x0
	v_min_u32_e32 v8, v5, v7
	v_max_u32_e32 v5, v5, v7
	s_clause 0x1
	flat_store_b32 v[34:35], v8
	flat_store_b32 v[36:37], v5 offset:256
	;; [unrolled: 12-line block ×7, first 2 shown]
	s_wait_storecnt_dscnt 0x0
	s_barrier_signal -1
	s_barrier_wait -1
	flat_load_b64 v[12:13], v[10:11]
	s_wait_loadcnt_dscnt 0x0
	v_min_u32_e32 v14, v12, v13
	v_max_u32_e32 v15, v12, v13
	flat_store_b64 v[10:11], v[14:15]
	s_wait_storecnt_dscnt 0x0
	s_barrier_signal -1
	s_barrier_wait -1
	s_wait_xcnt 0x0
	v_cmpx_gt_u32_e32 0x100, v6
	s_cbranch_execz .LBB1_20
.LBB1_19:                               ; =>This Inner Loop Header: Depth=1
	v_add_nc_u32_e32 v7, 0x80, v6
	v_add_nc_u32_e32 v8, v4, v6
	v_cmp_lt_u32_e32 vcc_lo, 0x7f, v6
	s_delay_alu instid0(VALU_DEP_3) | instskip(NEXT) | instid1(VALU_DEP_3)
	v_mov_b32_e32 v6, v7
	v_lshlrev_b64_e32 v[10:11], 2, v[8:9]
	s_or_b32 s1, vcc_lo, s1
	s_delay_alu instid0(VALU_DEP_1)
	v_add_nc_u64_e32 v[12:13], v[0:1], v[10:11]
	v_add_nc_u64_e32 v[10:11], v[2:3], v[10:11]
	flat_load_b32 v5, v[12:13]
	s_wait_loadcnt_dscnt 0x0
	flat_store_b32 v[10:11], v5
	s_wait_xcnt 0x0
	s_and_not1_b32 exec_lo, exec_lo, s1
	s_cbranch_execnz .LBB1_19
.LBB1_20:
	s_or_b32 exec_lo, exec_lo, s2
	s_delay_alu instid0(SALU_CYCLE_1)
	s_or_b32 exec_lo, exec_lo, s0
	s_wait_dscnt 0x0
	s_set_pc_i64 s[30:31]
.Lfunc_end1:
	.size	_Z14sort_thresholdIjEvPT_S1_jjS1_j, .Lfunc_end1-_Z14sort_thresholdIjEvPT_S1_jjS1_j
                                        ; -- End function
	.set .L_Z14sort_thresholdIjEvPT_S1_jjS1_j.num_vgpr, 52
	.set .L_Z14sort_thresholdIjEvPT_S1_jjS1_j.num_agpr, 0
	.set .L_Z14sort_thresholdIjEvPT_S1_jjS1_j.numbered_sgpr, 32
	.set .L_Z14sort_thresholdIjEvPT_S1_jjS1_j.num_named_barrier, 0
	.set .L_Z14sort_thresholdIjEvPT_S1_jjS1_j.private_seg_size, 0
	.set .L_Z14sort_thresholdIjEvPT_S1_jjS1_j.uses_vcc, 1
	.set .L_Z14sort_thresholdIjEvPT_S1_jjS1_j.uses_flat_scratch, 1
	.set .L_Z14sort_thresholdIjEvPT_S1_jjS1_j.has_dyn_sized_stack, 0
	.set .L_Z14sort_thresholdIjEvPT_S1_jjS1_j.has_recursion, 0
	.set .L_Z14sort_thresholdIjEvPT_S1_jjS1_j.has_indirect_call, 0
	.section	.AMDGPU.csdata,"",@progbits
; Function info:
; codeLenInByte = 6088
; TotalNumSgprs: 34
; NumVgprs: 52
; ScratchSize: 0
; MemoryBound: 0
	.section	.text._Z13lqsort_kernelIjEvPT_S1_P11work_recordIS0_E,"axG",@progbits,_Z13lqsort_kernelIjEvPT_S1_P11work_recordIS0_E,comdat
	.protected	_Z13lqsort_kernelIjEvPT_S1_P11work_recordIS0_E ; -- Begin function _Z13lqsort_kernelIjEvPT_S1_P11work_recordIS0_E
	.globl	_Z13lqsort_kernelIjEvPT_S1_P11work_recordIS0_E
	.p2align	8
	.type	_Z13lqsort_kernelIjEvPT_S1_P11work_recordIS0_E,@function
_Z13lqsort_kernelIjEvPT_S1_P11work_recordIS0_E: ; @_Z13lqsort_kernelIjEvPT_S1_P11work_recordIS0_E
; %bb.0:
	s_clause 0x1
	s_load_b64 s[2:3], s[0:1], 0x10
	s_load_b128 s[16:19], s[0:1], 0x0
	s_bfe_u32 s4, ttmp6, 0x4000c
	s_and_b32 s5, ttmp6, 15
	s_add_co_i32 s4, s4, 1
	s_getreg_b32 s6, hwreg(HW_REG_IB_STS2, 6, 4)
	s_mul_i32 s4, ttmp9, s4
	v_dual_mov_b32 v40, v0 :: v_dual_mov_b32 v0, 0
	s_add_co_i32 s4, s5, s4
	s_cmp_eq_u32 s6, 0
	s_mov_b32 s5, 0
	s_cselect_b32 s4, ttmp9, s4
	s_mov_b32 s32, 0
	s_lshl_b64 s[4:5], s[4:5], 4
	s_wait_kmcnt 0x0
	s_add_nc_u64 s[2:3], s[2:3], s[4:5]
	v_cmp_eq_u32_e64 s5, 0, v40
	s_clause 0x1
	global_load_b64 v[2:3], v0, s[2:3]
	global_load_b32 v4, v0, s[2:3] offset:12
	s_wait_loadcnt 0x1
	v_readfirstlane_b32 s20, v2
	s_delay_alu instid0(VALU_DEP_1)
	v_subrev_nc_u32_e32 v1, s20, v3
	s_wait_xcnt 0x0
	s_and_saveexec_b32 s2, s5
	s_cbranch_execz .LBB2_2
; %bb.1:
	v_mov_b32_e32 v2, 1
	ds_store_b32 v0, v0 offset:15364
	ds_store_b96 v0, v[0:2] offset:15904
.LBB2_2:
	s_or_b32 exec_lo, exec_lo, s2
	s_wait_loadcnt 0x0
	v_cmp_eq_u32_e32 vcc_lo, 1, v4
	v_cmp_lt_u32_e64 s2, v40, v1
	s_mov_b32 s3, -1
	s_cbranch_vccnz .LBB2_19
; %bb.3:
	s_and_saveexec_b32 s3, s2
	s_cbranch_execz .LBB2_18
; %bb.4:
	v_xad_u32 v0, v40, -1, v3
	s_mov_b32 s8, -1
	s_mov_b32 s6, exec_lo
	s_delay_alu instid0(VALU_DEP_1) | instskip(SKIP_1) | instid1(VALU_DEP_2)
	v_subrev_nc_u32_e32 v2, s20, v0
	v_mov_b32_e32 v0, v40
	v_cmp_gt_u32_e64 s4, 0xc80, v2
	v_cmpx_lt_u32_e32 0xc7f, v2
	s_cbranch_execz .LBB2_15
; %bb.5:
	v_dual_sub_nc_u32 v0, v40, v3 :: v_dual_add_nc_u32 v4, s20, v40
	s_delay_alu instid0(VALU_DEP_1) | instskip(NEXT) | instid1(VALU_DEP_1)
	v_add_nc_u32_e32 v0, s20, v0
	v_or_b32_e32 v0, 0x7f, v0
	s_delay_alu instid0(VALU_DEP_1)
	v_cmp_ge_u32_e32 vcc_lo, v0, v4
	v_mov_b32_e32 v0, v40
	s_and_saveexec_b32 s7, vcc_lo
	s_cbranch_execz .LBB2_14
; %bb.6:
	v_lshrrev_b32_e32 v0, 7, v2
	v_dual_mov_b32 v6, 0 :: v_dual_add_nc_u32 v41, 0x80, v40
	s_delay_alu instid0(VALU_DEP_2) | instskip(NEXT) | instid1(VALU_DEP_1)
	v_add_nc_u32_e32 v2, -1, v0
	v_lshrrev_b32_e32 v4, 1, v2
	v_cmp_lt_u32_e32 vcc_lo, 13, v2
	s_delay_alu instid0(VALU_DEP_2)
	v_add_nc_u32_e32 v2, 1, v4
	v_mov_b64_e32 v[4:5], v[40:41]
	s_and_saveexec_b32 s8, vcc_lo
	s_cbranch_execz .LBB2_10
; %bb.7:
	v_mov_b64_e32 v[4:5], v[40:41]
	v_dual_lshlrev_b32 v9, 2, v40 :: v_dual_bitop2_b32 v8, -8, v2 bitop3:0x40
	v_mov_b32_e32 v7, 0
	s_add_co_i32 s9, s20, 0x100
	s_add_co_i32 s10, s20, 0x200
	;; [unrolled: 1-line block ×7, first 2 shown]
	s_mov_b32 s11, s9
	s_mov_b32 s12, s10
	;; [unrolled: 1-line block ×9, first 2 shown]
.LBB2_8:                                ; =>This Inner Loop Header: Depth=1
	v_dual_add_nc_u32 v10, s20, v5 :: v_dual_add_nc_u32 v6, s20, v4
	v_dual_mov_b32 v25, v7 :: v_dual_mov_b32 v11, v7
	v_dual_mov_b32 v13, v7 :: v_dual_add_nc_u32 v12, s11, v5
	v_add_nc_u32_e32 v14, s12, v5
	s_delay_alu instid0(VALU_DEP_4)
	v_lshl_add_u64 v[26:27], v[6:7], 2, s[18:19]
	v_add_nc_u32_e32 v6, s9, v4
	v_lshl_add_u64 v[10:11], v[10:11], 2, s[18:19]
	s_clause 0x1
	global_load_b32 v30, v[26:27], off
	global_load_b32 v31, v[10:11], off
	v_lshl_add_u64 v[28:29], v[6:7], 2, s[18:19]
	v_dual_mov_b32 v15, v7 :: v_dual_add_nc_u32 v6, s10, v4
	v_add_nc_u32_e32 v16, s15, v5
	v_lshl_add_u64 v[12:13], v[12:13], 2, s[18:19]
	s_clause 0x1
	global_load_b32 v26, v[28:29], off
	global_load_b32 v27, v[12:13], off
	s_wait_xcnt 0x2
	v_lshl_add_u64 v[10:11], v[6:7], 2, s[18:19]
	v_dual_mov_b32 v17, v7 :: v_dual_add_nc_u32 v6, s13, v4
	v_add_nc_u32_e32 v18, s21, v5
	v_lshl_add_u64 v[14:15], v[14:15], 2, s[18:19]
	s_clause 0x1
	global_load_b32 v28, v[10:11], off
	global_load_b32 v29, v[14:15], off
	s_wait_xcnt 0x2
	v_lshl_add_u64 v[12:13], v[6:7], 2, s[18:19]
	v_dual_mov_b32 v19, v7 :: v_dual_add_nc_u32 v6, s14, v4
	v_add_nc_u32_e32 v20, s24, v5
	v_lshl_add_u64 v[16:17], v[16:17], 2, s[18:19]
	s_clause 0x1
	global_load_b32 v14, v[12:13], off
	global_load_b32 v15, v[16:17], off
	v_lshl_add_u64 v[10:11], v[6:7], 2, s[18:19]
	v_dual_mov_b32 v21, v7 :: v_dual_add_nc_u32 v6, s22, v4
	v_add_nc_u32_e32 v22, s25, v5
	v_lshl_add_u64 v[18:19], v[18:19], 2, s[18:19]
	v_dual_mov_b32 v23, v7 :: v_dual_add_nc_u32 v24, s28, v5
	s_wait_xcnt 0x1
	v_lshl_add_u64 v[12:13], v[6:7], 2, s[18:19]
	v_add_nc_u32_e32 v6, s23, v4
	s_clause 0x1
	global_load_b32 v16, v[10:11], off
	global_load_b32 v17, v[18:19], off
	v_lshl_add_u64 v[20:21], v[20:21], 2, s[18:19]
	v_lshl_add_u64 v[22:23], v[22:23], 2, s[18:19]
	s_clause 0x1
	global_load_b32 v18, v[12:13], off
	global_load_b32 v19, v[20:21], off
	v_lshl_add_u64 v[10:11], v[6:7], 2, s[18:19]
	v_add_nc_u32_e32 v6, s26, v4
	v_lshl_add_u64 v[24:25], v[24:25], 2, s[18:19]
	s_add_co_i32 s29, s29, 16
	v_add_nc_u32_e32 v8, -8, v8
	v_add_nc_u32_e32 v5, 0x800, v5
	s_wait_xcnt 0x1
	v_lshl_add_u64 v[12:13], v[6:7], 2, s[18:19]
	s_clause 0x3
	global_load_b32 v20, v[10:11], off
	global_load_b32 v21, v[22:23], off
	;; [unrolled: 1-line block ×4, first 2 shown]
	v_mov_b32_e32 v6, s29
	v_cmp_eq_u32_e32 vcc_lo, 0, v8
	v_add_nc_u32_e32 v4, 0x800, v4
	s_wait_loadcnt 0xe
	ds_store_2addr_stride64_b32 v9, v30, v31 offset1:2
	s_wait_loadcnt 0xc
	ds_store_2addr_stride64_b32 v9, v26, v27 offset0:4 offset1:6
	s_wait_loadcnt 0xa
	ds_store_2addr_stride64_b32 v9, v28, v29 offset0:8 offset1:10
	;; [unrolled: 2-line block ×7, first 2 shown]
	v_add_nc_u32_e32 v9, 0x2000, v9
	s_or_b32 s27, vcc_lo, s27
	s_wait_xcnt 0x0
	s_and_not1_b32 exec_lo, exec_lo, s27
	s_cbranch_execnz .LBB2_8
; %bb.9:
	s_or_b32 exec_lo, exec_lo, s27
.LBB2_10:
	s_delay_alu instid0(SALU_CYCLE_1) | instskip(SKIP_3) | instid1(VALU_DEP_1)
	s_or_b32 exec_lo, exec_lo, s8
	v_and_b32_e32 v2, 7, v2
	s_mov_b32 s9, 0
	s_mov_b32 s8, exec_lo
	v_cmpx_ne_u32_e32 0, v2
	s_cbranch_execz .LBB2_13
; %bb.11:
	v_lshlrev_b32_e32 v7, 2, v40
	s_delay_alu instid0(VALU_DEP_1)
	v_lshl_add_u32 v8, v6, 9, v7
	v_mov_b32_e32 v7, 0
.LBB2_12:                               ; =>This Inner Loop Header: Depth=1
	v_dual_add_nc_u32 v10, s20, v5 :: v_dual_add_nc_u32 v6, s20, v4
	s_delay_alu instid0(VALU_DEP_2) | instskip(SKIP_2) | instid1(VALU_DEP_4)
	v_dual_mov_b32 v11, v7 :: v_dual_add_nc_u32 v2, -1, v2
	v_add_nc_u32_e32 v5, 0x100, v5
	v_add_nc_u32_e32 v4, 0x100, v4
	v_lshl_add_u64 v[12:13], v[6:7], 2, s[18:19]
	s_delay_alu instid0(VALU_DEP_4)
	v_lshl_add_u64 v[10:11], v[10:11], 2, s[18:19]
	v_cmp_eq_u32_e32 vcc_lo, 0, v2
	s_clause 0x1
	global_load_b32 v6, v[12:13], off
	global_load_b32 v9, v[10:11], off
	s_or_b32 s9, vcc_lo, s9
	s_wait_loadcnt 0x0
	ds_store_2addr_stride64_b32 v8, v6, v9 offset1:2
	v_add_nc_u32_e32 v8, 0x400, v8
	s_and_not1_b32 exec_lo, exec_lo, s9
	s_cbranch_execnz .LBB2_12
.LBB2_13:
	s_or_b32 exec_lo, exec_lo, s8
	v_add_nc_u32_e32 v0, 1, v0
	s_delay_alu instid0(VALU_DEP_1) | instskip(NEXT) | instid1(VALU_DEP_1)
	v_and_b32_e32 v2, 0x3fffffe, v0
	v_cmp_ne_u32_e32 vcc_lo, v0, v2
	v_lshl_add_u32 v0, v2, 7, v40
	s_or_not1_b32 s8, vcc_lo, exec_lo
.LBB2_14:
	s_or_b32 exec_lo, exec_lo, s7
	s_delay_alu instid0(SALU_CYCLE_1) | instskip(SKIP_1) | instid1(SALU_CYCLE_1)
	s_and_not1_b32 s4, s4, exec_lo
	s_and_b32 s7, s8, exec_lo
	s_or_b32 s4, s4, s7
.LBB2_15:
	s_or_b32 exec_lo, exec_lo, s6
	s_delay_alu instid0(SALU_CYCLE_1)
	s_and_b32 exec_lo, exec_lo, s4
	s_cbranch_execz .LBB2_18
; %bb.16:
	v_lshlrev_b32_e32 v2, 2, v0
	s_mov_b32 s4, 0
.LBB2_17:                               ; =>This Inner Loop Header: Depth=1
	v_add_nc_u32_e32 v4, s20, v0
	v_add_nc_u32_e32 v0, 0x80, v0
	global_load_b32 v4, v4, s[18:19] scale_offset
	v_cmp_ge_u32_e32 vcc_lo, v0, v1
	s_or_b32 s4, vcc_lo, s4
	s_wait_loadcnt 0x0
	ds_store_b32 v2, v4
	v_add_nc_u32_e32 v2, 0x200, v2
	s_and_not1_b32 exec_lo, exec_lo, s4
	s_cbranch_execnz .LBB2_17
.LBB2_18:
	s_or_b32 exec_lo, exec_lo, s3
	s_mov_b32 s3, 0
.LBB2_19:
	s_delay_alu instid0(SALU_CYCLE_1)
	s_and_not1_b32 vcc_lo, exec_lo, s3
	s_cbranch_vccnz .LBB2_36
; %bb.20:
	s_and_saveexec_b32 s3, s2
	s_cbranch_execz .LBB2_35
; %bb.21:
	v_xad_u32 v0, v40, -1, v3
	s_mov_b32 s7, -1
	s_mov_b32 s4, exec_lo
	s_delay_alu instid0(VALU_DEP_1) | instskip(SKIP_1) | instid1(VALU_DEP_2)
	v_subrev_nc_u32_e32 v2, s20, v0
	v_mov_b32_e32 v0, v40
	v_cmp_gt_u32_e64 s2, 0xc80, v2
	v_cmpx_lt_u32_e32 0xc7f, v2
	s_cbranch_execz .LBB2_32
; %bb.22:
	v_dual_sub_nc_u32 v0, v40, v3 :: v_dual_add_nc_u32 v3, s20, v40
	s_delay_alu instid0(VALU_DEP_1) | instskip(NEXT) | instid1(VALU_DEP_1)
	v_add_nc_u32_e32 v0, s20, v0
	v_or_b32_e32 v0, 0x7f, v0
	s_delay_alu instid0(VALU_DEP_1)
	v_cmp_ge_u32_e32 vcc_lo, v0, v3
	v_mov_b32_e32 v0, v40
	s_and_saveexec_b32 s6, vcc_lo
	s_cbranch_execz .LBB2_31
; %bb.23:
	v_lshrrev_b32_e32 v0, 7, v2
	v_dual_mov_b32 v4, 0 :: v_dual_add_nc_u32 v41, 0x80, v40
	s_delay_alu instid0(VALU_DEP_2) | instskip(NEXT) | instid1(VALU_DEP_1)
	v_add_nc_u32_e32 v2, -1, v0
	v_lshrrev_b32_e32 v3, 1, v2
	v_cmp_lt_u32_e32 vcc_lo, 13, v2
	s_delay_alu instid0(VALU_DEP_2)
	v_add_nc_u32_e32 v6, 1, v3
	v_mov_b64_e32 v[2:3], v[40:41]
	s_and_saveexec_b32 s7, vcc_lo
	s_cbranch_execz .LBB2_27
; %bb.24:
	v_mov_b64_e32 v[2:3], v[40:41]
	v_dual_lshlrev_b32 v8, 2, v40 :: v_dual_bitop2_b32 v7, -8, v6 bitop3:0x40
	v_mov_b32_e32 v5, 0
	s_add_co_i32 s8, s20, 0x100
	s_add_co_i32 s9, s20, 0x200
	;; [unrolled: 1-line block ×7, first 2 shown]
	s_mov_b32 s10, s8
	s_mov_b32 s11, s9
	;; [unrolled: 1-line block ×9, first 2 shown]
.LBB2_25:                               ; =>This Inner Loop Header: Depth=1
	v_dual_add_nc_u32 v10, s20, v3 :: v_dual_add_nc_u32 v4, s20, v2
	v_dual_mov_b32 v25, v5 :: v_dual_mov_b32 v11, v5
	v_dual_mov_b32 v13, v5 :: v_dual_add_nc_u32 v12, s10, v3
	v_add_nc_u32_e32 v14, s11, v3
	s_delay_alu instid0(VALU_DEP_4)
	v_lshl_add_u64 v[26:27], v[4:5], 2, s[16:17]
	v_add_nc_u32_e32 v4, s8, v2
	v_lshl_add_u64 v[10:11], v[10:11], 2, s[16:17]
	s_clause 0x1
	global_load_b32 v9, v[26:27], off
	global_load_b32 v30, v[10:11], off
	v_lshl_add_u64 v[28:29], v[4:5], 2, s[16:17]
	v_dual_add_nc_u32 v4, s9, v2 :: v_dual_add_nc_u32 v7, -8, v7
	v_dual_mov_b32 v15, v5 :: v_dual_add_nc_u32 v16, s14, v3
	v_lshl_add_u64 v[12:13], v[12:13], 2, s[16:17]
	s_wait_xcnt 0x0
	s_delay_alu instid0(VALU_DEP_3)
	v_lshl_add_u64 v[10:11], v[4:5], 2, s[16:17]
	v_add_nc_u32_e32 v4, s12, v2
	s_clause 0x1
	global_load_b32 v26, v[28:29], off
	global_load_b32 v27, v[12:13], off
	v_dual_mov_b32 v17, v5 :: v_dual_add_nc_u32 v18, s15, v3
	s_wait_xcnt 0x0
	v_lshl_add_u64 v[12:13], v[4:5], 2, s[16:17]
	v_add_nc_u32_e32 v4, s13, v2
	v_lshl_add_u64 v[14:15], v[14:15], 2, s[16:17]
	s_clause 0x1
	global_load_b32 v28, v[10:11], off
	global_load_b32 v29, v[14:15], off
	s_wait_xcnt 0x1
	v_lshl_add_u64 v[10:11], v[4:5], 2, s[16:17]
	v_dual_mov_b32 v19, v5 :: v_dual_add_nc_u32 v4, s18, v2
	v_add_nc_u32_e32 v20, s21, v3
	v_lshl_add_u64 v[16:17], v[16:17], 2, s[16:17]
	s_clause 0x1
	global_load_b32 v14, v[12:13], off
	global_load_b32 v15, v[16:17], off
	s_wait_xcnt 0x1
	v_lshl_add_u64 v[12:13], v[4:5], 2, s[16:17]
	v_dual_mov_b32 v21, v5 :: v_dual_add_nc_u32 v4, s19, v2
	v_add_nc_u32_e32 v22, s22, v3
	v_lshl_add_u64 v[18:19], v[18:19], 2, s[16:17]
	v_dual_mov_b32 v23, v5 :: v_dual_add_nc_u32 v24, s25, v3
	s_clause 0x1
	global_load_b32 v16, v[10:11], off
	global_load_b32 v17, v[18:19], off
	s_wait_xcnt 0x1
	v_lshl_add_u64 v[10:11], v[4:5], 2, s[16:17]
	v_add_nc_u32_e32 v4, s23, v2
	v_lshl_add_u64 v[20:21], v[20:21], 2, s[16:17]
	v_lshl_add_u64 v[22:23], v[22:23], 2, s[16:17]
	s_clause 0x1
	global_load_b32 v18, v[12:13], off
	global_load_b32 v19, v[20:21], off
	s_wait_xcnt 0x1
	v_lshl_add_u64 v[12:13], v[4:5], 2, s[16:17]
	v_lshl_add_u64 v[24:25], v[24:25], 2, s[16:17]
	s_clause 0x3
	global_load_b32 v20, v[10:11], off
	global_load_b32 v21, v[22:23], off
	;; [unrolled: 1-line block ×4, first 2 shown]
	s_add_co_i32 s26, s26, 16
	v_cmp_eq_u32_e32 vcc_lo, 0, v7
	v_dual_mov_b32 v4, s26 :: v_dual_add_nc_u32 v3, 0x800, v3
	v_add_nc_u32_e32 v2, 0x800, v2
	s_wait_loadcnt 0xe
	ds_store_2addr_stride64_b32 v8, v9, v30 offset1:2
	s_wait_loadcnt 0xc
	ds_store_2addr_stride64_b32 v8, v26, v27 offset0:4 offset1:6
	s_wait_loadcnt 0xa
	ds_store_2addr_stride64_b32 v8, v28, v29 offset0:8 offset1:10
	;; [unrolled: 2-line block ×7, first 2 shown]
	v_add_nc_u32_e32 v8, 0x2000, v8
	s_or_b32 s24, vcc_lo, s24
	s_delay_alu instid0(SALU_CYCLE_1)
	s_and_not1_b32 exec_lo, exec_lo, s24
	s_cbranch_execnz .LBB2_25
; %bb.26:
	s_or_b32 exec_lo, exec_lo, s24
.LBB2_27:
	s_delay_alu instid0(SALU_CYCLE_1) | instskip(SKIP_3) | instid1(VALU_DEP_1)
	s_or_b32 exec_lo, exec_lo, s7
	v_and_b32_e32 v6, 7, v6
	s_mov_b32 s8, 0
	s_mov_b32 s7, exec_lo
	v_cmpx_ne_u32_e32 0, v6
	s_cbranch_execz .LBB2_30
; %bb.28:
	v_lshlrev_b32_e32 v5, 2, v40
	s_delay_alu instid0(VALU_DEP_1)
	v_lshl_add_u32 v7, v4, 9, v5
	v_mov_b32_e32 v5, 0
.LBB2_29:                               ; =>This Inner Loop Header: Depth=1
	v_dual_add_nc_u32 v8, s20, v3 :: v_dual_add_nc_u32 v4, s20, v2
	s_delay_alu instid0(VALU_DEP_2) | instskip(SKIP_2) | instid1(VALU_DEP_4)
	v_dual_mov_b32 v9, v5 :: v_dual_add_nc_u32 v6, -1, v6
	v_add_nc_u32_e32 v3, 0x100, v3
	v_add_nc_u32_e32 v2, 0x100, v2
	v_lshl_add_u64 v[10:11], v[4:5], 2, s[16:17]
	s_delay_alu instid0(VALU_DEP_4)
	v_lshl_add_u64 v[8:9], v[8:9], 2, s[16:17]
	v_cmp_eq_u32_e32 vcc_lo, 0, v6
	s_clause 0x1
	global_load_b32 v4, v[10:11], off
	global_load_b32 v12, v[8:9], off
	s_or_b32 s8, vcc_lo, s8
	s_wait_loadcnt 0x0
	ds_store_2addr_stride64_b32 v7, v4, v12 offset1:2
	v_add_nc_u32_e32 v7, 0x400, v7
	s_and_not1_b32 exec_lo, exec_lo, s8
	s_cbranch_execnz .LBB2_29
.LBB2_30:
	s_or_b32 exec_lo, exec_lo, s7
	v_add_nc_u32_e32 v0, 1, v0
	s_delay_alu instid0(VALU_DEP_1) | instskip(NEXT) | instid1(VALU_DEP_1)
	v_and_b32_e32 v2, 0x3fffffe, v0
	v_cmp_ne_u32_e32 vcc_lo, v0, v2
	v_lshl_add_u32 v0, v2, 7, v40
	s_or_not1_b32 s7, vcc_lo, exec_lo
.LBB2_31:
	s_or_b32 exec_lo, exec_lo, s6
	s_delay_alu instid0(SALU_CYCLE_1) | instskip(SKIP_1) | instid1(SALU_CYCLE_1)
	s_and_not1_b32 s2, s2, exec_lo
	s_and_b32 s6, s7, exec_lo
	s_or_b32 s2, s2, s6
.LBB2_32:
	s_or_b32 exec_lo, exec_lo, s4
	s_delay_alu instid0(SALU_CYCLE_1)
	s_and_b32 exec_lo, exec_lo, s2
	s_cbranch_execz .LBB2_35
; %bb.33:
	v_lshlrev_b32_e32 v2, 2, v0
	s_mov_b32 s2, 0
.LBB2_34:                               ; =>This Inner Loop Header: Depth=1
	v_add_nc_u32_e32 v3, s20, v0
	v_add_nc_u32_e32 v0, 0x80, v0
	global_load_b32 v3, v3, s[16:17] scale_offset
	v_cmp_ge_u32_e32 vcc_lo, v0, v1
	s_or_b32 s2, vcc_lo, s2
	s_wait_loadcnt 0x0
	ds_store_b32 v2, v3
	v_add_nc_u32_e32 v2, 0x200, v2
	s_and_not1_b32 exec_lo, exec_lo, s2
	s_cbranch_execnz .LBB2_34
.LBB2_35:
	s_or_b32 exec_lo, exec_lo, s3
.LBB2_36:
	v_mov_b32_e32 v45, 0
	s_wait_dscnt 0x0
	s_barrier_signal -1
	s_barrier_wait -1
	ds_load_b32 v0, v45 offset:15364
	s_mov_b32 s21, 0
	s_wait_dscnt 0x0
	v_cmp_gt_i32_e32 vcc_lo, 0, v0
	s_cbranch_vccnz .LBB2_114
; %bb.37:
	v_dual_lshlrev_b32 v1, 2, v40 :: v_dual_bitop2_b32 v2, 1, v40 bitop3:0x40
	v_and_b32_e32 v3, 3, v40
	s_mov_b64 s[14:15], src_shared_base
	v_add_nc_u32_e32 v65, 0x80, v40
	s_delay_alu instid0(VALU_DEP_3)
	v_add_nc_u32_e32 v41, 0x3a00, v1
	v_cmp_eq_u32_e64 s6, 1, v2
	v_and_b32_e32 v2, 7, v40
	v_cmp_eq_u32_e64 s7, 3, v3
	v_and_b32_e32 v3, 15, v40
	v_add_nc_u32_e32 v46, 0x3c10, v1
	v_add_nc_u32_e32 v47, 0x3c0c, v1
	v_cmp_eq_u32_e64 s10, 7, v2
	v_and_b32_e32 v2, 31, v40
	v_cmp_eq_u32_e64 s11, 15, v3
	v_and_b32_e32 v3, 63, v40
	v_add_nc_u32_e32 v52, 0x39fc, v1
	v_add_nc_u32_e32 v53, 0x3c08, v1
	v_cmp_eq_u32_e64 s12, 31, v2
	v_and_b32_e32 v2, 0x7f, v40
	v_add_nc_u32_e32 v54, 0x39f8, v1
	v_add_nc_u32_e32 v55, 0x3c00, v1
	v_add_nc_u32_e32 v56, 0x39f0, v1
	v_add_nc_u32_e32 v57, 0x3bf0, v1
	v_add_nc_u32_e32 v58, 0x39e0, v1
	v_add_nc_u32_e32 v59, 0x3bd0, v1
	v_add_nc_u32_e32 v60, 0x39c0, v1
	v_cmp_eq_u32_e64 s13, 63, v3
	v_add_nc_u32_e32 v61, 0x3b90, v1
	v_add_nc_u32_e32 v62, 0x3980, v1
	v_cmp_eq_u32_e64 s14, 0x7f, v2
	v_add_nc_u32_e32 v63, 0x3b10, v1
	v_add_nc_u32_e32 v64, 0x3900, v1
	v_not_b32_e32 v66, v40
	v_add_nc_u32_e64 v67, 0x3c00, 0
	v_add_nc_u32_e64 v68, 0x3800, 0
	s_lshl_b64 s[2:3], s[20:21], 2
	s_mov_b32 s21, s20
	s_add_nc_u64 s[22:23], s[16:17], s[2:3]
	s_add_nc_u64 s[8:9], s[0:1], 24
	s_get_pc_i64 s[18:19]
	s_add_nc_u64 s[18:19], s[18:19], _Z14sort_thresholdIjEvPT_S1_jjS1_j@rel64+4
	s_branch .LBB2_39
.LBB2_38:                               ;   in Loop: Header=BB2_39 Depth=1
	ds_load_b32 v0, v45 offset:15364
	s_wait_dscnt 0x0
	v_cmp_lt_i32_e32 vcc_lo, -1, v0
	s_cbranch_vccz .LBB2_114
.LBB2_39:                               ; =>This Loop Header: Depth=1
                                        ;     Child Loop BB2_47 Depth 2
                                        ;     Child Loop BB2_52 Depth 2
	;; [unrolled: 1-line block ×5, first 2 shown]
	v_mul_lo_u32 v0, v0, 12
	s_delay_alu instid0(VALU_DEP_1)
	v_add_nc_u32_e32 v1, 0x3e20, v0
	ds_load_2addr_b32 v[42:43], v1 offset1:1
	ds_load_b32 v69, v0 offset:15912
	s_wait_dscnt 0x0
	s_barrier_signal -1
	s_barrier_wait -1
	s_and_saveexec_b32 s0, s5
	s_cbranch_execz .LBB2_41
; %bb.40:                               ;   in Loop: Header=BB2_39 Depth=1
	ds_load_b32 v0, v45 offset:15364
	s_wait_dscnt 0x0
	v_add_nc_u32_e32 v0, -1, v0
	ds_store_2addr_b32 v67, v0, v45 offset0:1 offset1:133
	ds_store_b32 v45, v45 offset:15976
.LBB2_41:                               ;   in Loop: Header=BB2_39 Depth=1
	s_or_b32 exec_lo, exec_lo, s0
	v_cmp_eq_u32_e32 vcc_lo, 1, v69
	v_dual_mov_b32 v1, s15 :: v_dual_mov_b32 v3, s15
	v_cndmask_b32_e64 v0, 0x1b00, 0, vcc_lo
	v_cndmask_b32_e64 v2, 0, 0x1b00, vcc_lo
	v_cmp_ge_u32_e32 vcc_lo, v42, v43
	ds_store_b32 v41, v45
	ds_store_b32 v46, v45
	ds_store_2addr_b64 v68, v[0:1], v[2:3] offset0:129 offset1:195
	s_wait_dscnt 0x0
	s_barrier_signal -1
	s_barrier_wait -1
	ds_load_b64 v[0:1], v45 offset:15368
	s_and_b32 vcc_lo, exec_lo, vcc_lo
	s_wait_dscnt 0x0
	v_readfirstlane_b32 s0, v0
	v_readfirstlane_b32 s1, v1
	flat_load_b32 v4, v42, s[0:1] scale_offset
	s_cbranch_vccnz .LBB2_43
; %bb.42:                               ;   in Loop: Header=BB2_39 Depth=1
	v_dual_add_nc_u32 v2, v43, v42 :: v_dual_add_nc_u32 v3, -1, v43
	s_wait_xcnt 0x0
	v_readfirstlane_b32 s0, v0
	v_readfirstlane_b32 s1, v1
	s_delay_alu instid0(VALU_DEP_3)
	v_lshrrev_b32_e32 v2, 1, v2
	s_clause 0x1
	flat_load_b32 v5, v2, s[0:1] scale_offset
	flat_load_b32 v6, v3, s[0:1] scale_offset
	s_wait_loadcnt_dscnt 0x101
	s_wait_xcnt 0x1
	v_max_u32_e32 v2, v4, v5
	s_wait_loadcnt_dscnt 0x0
	s_wait_xcnt 0x0
	v_minmax_u32 v3, v4, v5, v6
	s_delay_alu instid0(VALU_DEP_2) | instskip(NEXT) | instid1(VALU_DEP_2)
	v_cmp_lt_u32_e32 vcc_lo, v2, v6
	v_cndmask_b32_e32 v4, v3, v2, vcc_lo
.LBB2_43:                               ;   in Loop: Header=BB2_39 Depth=1
	v_dual_add_nc_u32 v6, v42, v40 :: v_dual_mov_b32 v2, 0
	v_mov_b32_e32 v3, 0
	s_delay_alu instid0(VALU_DEP_2)
	v_cmp_lt_u32_e32 vcc_lo, v6, v43
	s_wait_xcnt 0x0
	s_and_saveexec_b32 s2, vcc_lo
	s_cbranch_execz .LBB2_55
; %bb.44:                               ;   in Loop: Header=BB2_39 Depth=1
	v_add_max_u32_e64 v8, v65, v42, v43
	v_mov_b32_e32 v5, v6
	s_mov_b32 s4, exec_lo
	s_delay_alu instid0(VALU_DEP_2) | instskip(NEXT) | instid1(VALU_DEP_1)
	v_dual_mov_b32 v3, 0 :: v_dual_add_nc_u32 v2, v8, v66
	v_dual_mov_b32 v2, 0 :: v_dual_sub_nc_u32 v7, v2, v42
	s_delay_alu instid0(VALU_DEP_1)
	v_cmp_gt_u32_e64 s3, 0x880, v7
	v_cmpx_lt_u32_e32 0x87f, v7
	s_cbranch_execz .LBB2_50
; %bb.45:                               ;   in Loop: Header=BB2_39 Depth=1
	v_dual_mov_b32 v3, 0 :: v_dual_sub_nc_u32 v2, v40, v8
	s_mov_b32 s1, -1
	s_delay_alu instid0(VALU_DEP_1) | instskip(NEXT) | instid1(VALU_DEP_1)
	v_add_nc_u32_e32 v2, v2, v42
	v_or_b32_e32 v5, 0x7f, v2
	v_mov_b32_e32 v2, 0
	s_delay_alu instid0(VALU_DEP_2)
	v_cmp_ge_u32_e64 s0, v5, v6
	v_mov_b32_e32 v5, v6
	s_and_saveexec_b32 s24, s0
	s_cbranch_execz .LBB2_49
; %bb.46:                               ;   in Loop: Header=BB2_39 Depth=1
	s_wait_loadcnt_dscnt 0x0
	v_dual_mov_b32 v3, v4 :: v_dual_lshrrev_b32 v2, 7, v7
	v_dual_mov_b32 v12, 0 :: v_dual_add_nc_u32 v7, 0x80, v6
	v_dual_mov_b32 v13, 0 :: v_dual_mov_b32 v14, 0
	s_delay_alu instid0(VALU_DEP_3) | instskip(NEXT) | instid1(VALU_DEP_3)
	v_dual_mov_b32 v11, 0 :: v_dual_add_nc_u32 v2, 1, v2
	v_mov_b64_e32 v[8:9], v[6:7]
	s_mov_b32 s25, 0
	s_delay_alu instid0(VALU_DEP_2) | instskip(NEXT) | instid1(VALU_DEP_1)
	v_and_b32_e32 v10, 0x3fffffe, v2
	v_mov_b32_e32 v5, v10
.LBB2_47:                               ;   Parent Loop BB2_39 Depth=1
                                        ; =>  This Inner Loop Header: Depth=2
	s_delay_alu instid0(VALU_DEP_1) | instskip(SKIP_1) | instid1(VALU_DEP_2)
	v_dual_mov_b32 v44, v8 :: v_dual_add_nc_u32 v5, -2, v5
	v_add_nc_u32_e32 v8, 0x100, v8
	v_lshl_add_u64 v[16:17], v[44:45], 2, v[0:1]
	v_dual_mov_b32 v44, v9 :: v_dual_add_nc_u32 v9, 0x100, v9
	s_delay_alu instid0(VALU_DEP_4)
	v_cmp_eq_u32_e64 s0, 0, v5
	flat_load_b32 v7, v[16:17]
	s_wait_xcnt 0x0
	v_lshl_add_u64 v[16:17], v[44:45], 2, v[0:1]
	s_or_b32 s25, s0, s25
	flat_load_b32 v15, v[16:17]
	s_wait_loadcnt_dscnt 0x101
	v_cmp_lt_u32_e64 s1, v7, v4
	s_delay_alu instid0(VALU_DEP_1) | instskip(SKIP_1) | instid1(VALU_DEP_1)
	v_add_co_ci_u32_e64 v11, null, 0, v11, s1
	v_cmp_gt_u32_e64 s1, v7, v4
	v_add_co_ci_u32_e64 v13, null, 0, v13, s1
	s_wait_loadcnt_dscnt 0x0
	v_cmp_lt_u32_e64 s1, v15, v3
	s_delay_alu instid0(VALU_DEP_1) | instskip(SKIP_1) | instid1(VALU_DEP_1)
	v_add_co_ci_u32_e64 v12, null, 0, v12, s1
	v_cmp_gt_u32_e64 s1, v15, v3
	v_add_co_ci_u32_e64 v14, null, 0, v14, s1
	s_wait_xcnt 0x0
	s_and_not1_b32 exec_lo, exec_lo, s25
	s_cbranch_execnz .LBB2_47
; %bb.48:                               ;   in Loop: Header=BB2_39 Depth=1
	s_or_b32 exec_lo, exec_lo, s25
	v_cmp_ne_u32_e64 s0, v2, v10
	v_lshl_add_u32 v5, v10, 7, v6
	v_dual_add_nc_u32 v3, v11, v12 :: v_dual_add_nc_u32 v2, v13, v14
	s_or_not1_b32 s1, s0, exec_lo
.LBB2_49:                               ;   in Loop: Header=BB2_39 Depth=1
	s_or_b32 exec_lo, exec_lo, s24
	s_delay_alu instid0(SALU_CYCLE_1) | instskip(SKIP_1) | instid1(SALU_CYCLE_1)
	s_and_not1_b32 s0, s3, exec_lo
	s_and_b32 s1, s1, exec_lo
	s_or_b32 s3, s0, s1
.LBB2_50:                               ;   in Loop: Header=BB2_39 Depth=1
	s_or_b32 exec_lo, exec_lo, s4
	s_and_saveexec_b32 s4, s3
	s_cbranch_execz .LBB2_54
; %bb.51:                               ;   in Loop: Header=BB2_39 Depth=1
	s_mov_b32 s3, 0
.LBB2_52:                               ;   Parent Loop BB2_39 Depth=1
                                        ; =>  This Inner Loop Header: Depth=2
	v_readfirstlane_b32 s0, v0
	v_readfirstlane_b32 s1, v1
	flat_load_b32 v7, v5, s[0:1] scale_offset
	s_wait_xcnt 0x0
	v_add_nc_u32_e32 v5, 0x80, v5
	s_delay_alu instid0(VALU_DEP_1) | instskip(SKIP_3) | instid1(VALU_DEP_1)
	v_cmp_ge_u32_e64 s0, v5, v43
	s_or_b32 s3, s0, s3
	s_wait_loadcnt_dscnt 0x0
	v_cmp_lt_u32_e64 s1, v7, v4
	v_add_co_ci_u32_e64 v3, null, 0, v3, s1
	v_cmp_gt_u32_e64 s1, v7, v4
	s_delay_alu instid0(VALU_DEP_1)
	v_add_co_ci_u32_e64 v2, null, 0, v2, s1
	s_and_not1_b32 exec_lo, exec_lo, s3
	s_cbranch_execnz .LBB2_52
; %bb.53:                               ;   in Loop: Header=BB2_39 Depth=1
	s_or_b32 exec_lo, exec_lo, s3
.LBB2_54:                               ;   in Loop: Header=BB2_39 Depth=1
	s_delay_alu instid0(SALU_CYCLE_1)
	s_or_b32 exec_lo, exec_lo, s4
.LBB2_55:                               ;   in Loop: Header=BB2_39 Depth=1
	s_delay_alu instid0(SALU_CYCLE_1)
	s_or_b32 exec_lo, exec_lo, s2
	ds_store_b32 v46, v3
	ds_store_b32 v41, v2
	s_wait_loadcnt_dscnt 0x0
	s_barrier_signal -1
	s_barrier_wait -1
	s_and_saveexec_b32 s0, s6
	s_cbranch_execz .LBB2_57
; %bb.56:                               ;   in Loop: Header=BB2_39 Depth=1
	ds_load_2addr_b32 v[0:1], v47 offset1:1
	ds_load_2addr_b32 v[2:3], v52 offset1:1
	s_wait_dscnt 0x0
	v_dual_add_nc_u32 v0, v1, v0 :: v_dual_add_nc_u32 v1, v3, v2
	ds_store_b32 v46, v0
	ds_store_b32 v41, v1
.LBB2_57:                               ;   in Loop: Header=BB2_39 Depth=1
	s_or_b32 exec_lo, exec_lo, s0
	s_wait_dscnt 0x0
	s_barrier_signal -1
	s_barrier_wait -1
	s_and_saveexec_b32 s0, s7
	s_cbranch_execz .LBB2_59
; %bb.58:                               ;   in Loop: Header=BB2_39 Depth=1
	ds_load_b32 v0, v53
	ds_load_b32 v1, v54
	ds_load_b32 v2, v46
	ds_load_b32 v3, v41
	s_wait_dscnt 0x0
	v_dual_add_nc_u32 v0, v2, v0 :: v_dual_add_nc_u32 v1, v3, v1
	ds_store_b32 v46, v0
	ds_store_b32 v41, v1
.LBB2_59:                               ;   in Loop: Header=BB2_39 Depth=1
	s_or_b32 exec_lo, exec_lo, s0
	s_wait_dscnt 0x0
	s_barrier_signal -1
	s_barrier_wait -1
	s_and_saveexec_b32 s0, s10
	s_cbranch_execz .LBB2_61
; %bb.60:                               ;   in Loop: Header=BB2_39 Depth=1
	ds_load_b32 v0, v55
	ds_load_b32 v1, v56
	ds_load_b32 v2, v46
	ds_load_b32 v3, v41
	s_wait_dscnt 0x0
	v_dual_add_nc_u32 v0, v2, v0 :: v_dual_add_nc_u32 v1, v3, v1
	ds_store_b32 v46, v0
	ds_store_b32 v41, v1
.LBB2_61:                               ;   in Loop: Header=BB2_39 Depth=1
	;; [unrolled: 16-line block ×6, first 2 shown]
	s_or_b32 exec_lo, exec_lo, s0
	s_wait_dscnt 0x0
	s_barrier_signal -1
	s_barrier_wait -1
	s_and_saveexec_b32 s0, s14
	s_cbranch_execz .LBB2_71
; %bb.70:                               ;   in Loop: Header=BB2_39 Depth=1
	ds_load_b32 v0, v46
	ds_load_b32 v1, v41
	s_wait_dscnt 0x0
	ds_store_b64 v45, v[0:1] offset:15888
	ds_store_b32 v45, v1 offset:15360
	ds_store_b32 v45, v0 offset:15976
	ds_store_b32 v46, v45
	ds_store_b32 v41, v45
.LBB2_71:                               ;   in Loop: Header=BB2_39 Depth=1
	s_or_b32 exec_lo, exec_lo, s0
	s_and_saveexec_b32 s0, s14
	s_cbranch_execz .LBB2_73
; %bb.72:                               ;   in Loop: Header=BB2_39 Depth=1
	ds_load_b32 v0, v63
	ds_load_b32 v1, v64
	ds_load_b32 v2, v46
	ds_load_b32 v3, v41
	s_wait_dscnt 0x0
	v_dual_add_nc_u32 v0, v2, v0 :: v_dual_add_nc_u32 v1, v3, v1
	ds_store_b32 v63, v2
	ds_store_b32 v64, v3
	ds_store_b32 v46, v0
	ds_store_b32 v41, v1
.LBB2_73:                               ;   in Loop: Header=BB2_39 Depth=1
	s_or_b32 exec_lo, exec_lo, s0
	s_wait_dscnt 0x0
	s_barrier_signal -1
	s_barrier_wait -1
	s_and_saveexec_b32 s0, s13
	s_cbranch_execz .LBB2_75
; %bb.74:                               ;   in Loop: Header=BB2_39 Depth=1
	ds_load_b32 v0, v61
	ds_load_b32 v1, v62
	ds_load_b32 v2, v46
	ds_load_b32 v3, v41
	s_wait_dscnt 0x0
	v_dual_add_nc_u32 v0, v2, v0 :: v_dual_add_nc_u32 v1, v3, v1
	ds_store_b32 v61, v2
	ds_store_b32 v62, v3
	ds_store_b32 v46, v0
	ds_store_b32 v41, v1
.LBB2_75:                               ;   in Loop: Header=BB2_39 Depth=1
	s_or_b32 exec_lo, exec_lo, s0
	s_wait_dscnt 0x0
	s_barrier_signal -1
	s_barrier_wait -1
	;; [unrolled: 18-line block ×6, first 2 shown]
	s_and_saveexec_b32 s0, s6
	s_cbranch_execz .LBB2_85
; %bb.84:                               ;   in Loop: Header=BB2_39 Depth=1
	ds_load_2addr_b32 v[0:1], v47 offset1:1
	ds_load_2addr_b32 v[2:3], v52 offset1:1
	s_wait_dscnt 0x0
	v_dual_add_nc_u32 v0, v1, v0 :: v_dual_add_nc_u32 v2, v3, v2
	ds_store_2addr_b32 v47, v1, v0 offset1:1
	ds_store_2addr_b32 v52, v3, v2 offset1:1
.LBB2_85:                               ;   in Loop: Header=BB2_39 Depth=1
	s_or_b32 exec_lo, exec_lo, s0
	s_wait_dscnt 0x0
	s_barrier_signal -1
	s_barrier_wait -1
	s_and_saveexec_b32 s0, vcc_lo
	s_cbranch_execz .LBB2_92
; %bb.86:                               ;   in Loop: Header=BB2_39 Depth=1
	ds_load_b32 v5, v41 offset:4
	ds_load_b32 v7, v46
	ds_load_2addr_b64 v[0:3], v68 offset0:129 offset1:195
	s_mov_b32 s1, 0
	s_wait_dscnt 0x2
	v_dual_mov_b32 v8, v6 :: v_dual_sub_nc_u32 v5, v43, v5
	s_wait_dscnt 0x1
	v_add_nc_u32_e32 v7, v7, v42
	s_branch .LBB2_88
.LBB2_87:                               ;   in Loop: Header=BB2_88 Depth=2
	s_or_b32 exec_lo, exec_lo, s2
	v_add_nc_u32_e32 v8, 0x80, v8
	s_delay_alu instid0(VALU_DEP_1) | instskip(SKIP_1) | instid1(SALU_CYCLE_1)
	v_cmp_ge_u32_e32 vcc_lo, v8, v43
	s_or_b32 s1, vcc_lo, s1
	s_and_not1_b32 exec_lo, exec_lo, s1
	s_cbranch_execz .LBB2_92
.LBB2_88:                               ;   Parent Loop BB2_39 Depth=1
                                        ; =>  This Inner Loop Header: Depth=2
	s_wait_dscnt 0x0
	v_readfirstlane_b32 s2, v0
	v_readfirstlane_b32 s3, v1
	flat_load_b32 v9, v8, s[2:3] scale_offset
	s_wait_xcnt 0x0
	s_mov_b32 s2, exec_lo
	s_wait_loadcnt_dscnt 0x0
	v_cmpx_lt_u32_e64 v9, v4
	s_cbranch_execz .LBB2_90
; %bb.89:                               ;   in Loop: Header=BB2_88 Depth=2
	v_readfirstlane_b32 s24, v2
	v_readfirstlane_b32 s25, v3
	v_add_nc_u32_e32 v10, 1, v7
	flat_store_b32 v7, v9, s[24:25] scale_offset
	s_wait_xcnt 0x0
	v_mov_b32_e32 v7, v10
.LBB2_90:                               ;   in Loop: Header=BB2_88 Depth=2
	s_or_b32 exec_lo, exec_lo, s2
	s_delay_alu instid0(SALU_CYCLE_1)
	s_mov_b32 s2, exec_lo
	v_cmpx_gt_u32_e64 v9, v4
	s_cbranch_execz .LBB2_87
; %bb.91:                               ;   in Loop: Header=BB2_88 Depth=2
	v_readfirstlane_b32 s24, v2
	v_readfirstlane_b32 s25, v3
	v_add_nc_u32_e32 v10, 1, v5
	flat_store_b32 v5, v9, s[24:25] scale_offset
	s_wait_xcnt 0x0
	v_mov_b32_e32 v5, v10
	s_branch .LBB2_87
.LBB2_92:                               ;   in Loop: Header=BB2_39 Depth=1
	s_or_b32 exec_lo, exec_lo, s0
	s_wait_storecnt_dscnt 0x0
	s_barrier_signal -1
	s_barrier_wait -1
	ds_load_2addr_b32 v[2:3], v67 offset0:133 offset1:154
	s_mov_b32 s0, exec_lo
	s_wait_dscnt 0x0
	v_dual_add_nc_u32 v0, v6, v3 :: v_dual_sub_nc_u32 v5, v43, v2
	s_delay_alu instid0(VALU_DEP_1)
	v_cmpx_lt_u32_e64 v0, v5
	s_cbranch_execz .LBB2_102
; %bb.93:                               ;   in Loop: Header=BB2_39 Depth=1
	v_add_nc_u32_e32 v2, v42, v3
	s_mov_b32 s2, exec_lo
	s_delay_alu instid0(VALU_DEP_1) | instskip(NEXT) | instid1(VALU_DEP_1)
	v_add_max_u32_e64 v3, v2, v65, v5
	v_add_nc_u32_e32 v1, v3, v66
	s_delay_alu instid0(VALU_DEP_1) | instskip(NEXT) | instid1(VALU_DEP_1)
	v_sub_nc_u32_e32 v1, v1, v2
	v_cmp_gt_u32_e64 s1, 0xf80, v1
	v_cmpx_lt_u32_e32 0xf7f, v1
	s_cbranch_execz .LBB2_99
; %bb.94:                               ;   in Loop: Header=BB2_39 Depth=1
	v_sub_nc_u32_e32 v3, v40, v3
	s_mov_b32 s4, -1
	s_mov_b32 s3, exec_lo
	s_delay_alu instid0(VALU_DEP_1) | instskip(NEXT) | instid1(VALU_DEP_1)
	v_dual_add_nc_u32 v2, v3, v2 :: v_dual_add_nc_u32 v3, s20, v0
	v_or_b32_e32 v2, 0x7f, v2
	s_delay_alu instid0(VALU_DEP_1)
	v_cmpx_ge_u32_e64 v2, v3
	s_cbranch_execz .LBB2_98
; %bb.95:                               ;   in Loop: Header=BB2_39 Depth=1
	v_lshrrev_b32_e32 v1, 7, v1
	s_mov_b32 s4, 0
	s_delay_alu instid0(VALU_DEP_1) | instskip(SKIP_1) | instid1(VALU_DEP_2)
	v_add_nc_u32_e32 v6, 1, v1
	v_add_nc_u32_e32 v1, 0x80, v0
	v_and_b32_e32 v7, 0x3fffffe, v6
	s_delay_alu instid0(VALU_DEP_2) | instskip(NEXT) | instid1(VALU_DEP_2)
	v_mov_b64_e32 v[2:3], v[0:1]
	v_mov_b32_e32 v8, v7
.LBB2_96:                               ;   Parent Loop BB2_39 Depth=1
                                        ; =>  This Inner Loop Header: Depth=2
	s_delay_alu instid0(VALU_DEP_1) | instskip(NEXT) | instid1(VALU_DEP_3)
	v_dual_add_nc_u32 v10, s21, v3 :: v_dual_add_nc_u32 v8, -2, v8
	v_dual_mov_b32 v11, v45 :: v_dual_add_nc_u32 v44, s20, v2
	v_add_nc_u32_e32 v3, 0x100, v3
	v_add_nc_u32_e32 v2, 0x100, v2
	s_delay_alu instid0(VALU_DEP_4) | instskip(NEXT) | instid1(VALU_DEP_4)
	v_cmp_eq_u32_e32 vcc_lo, 0, v8
	v_lshl_add_u64 v[12:13], v[44:45], 2, s[16:17]
	v_lshl_add_u64 v[10:11], v[10:11], 2, s[16:17]
	s_clause 0x1
	global_store_b32 v[12:13], v4, off
	global_store_b32 v[10:11], v4, off
	s_or_b32 s4, vcc_lo, s4
	s_wait_xcnt 0x0
	s_and_not1_b32 exec_lo, exec_lo, s4
	s_cbranch_execnz .LBB2_96
; %bb.97:                               ;   in Loop: Header=BB2_39 Depth=1
	s_or_b32 exec_lo, exec_lo, s4
	v_cmp_ne_u32_e32 vcc_lo, v6, v7
	v_lshl_add_u32 v0, v7, 7, v0
	s_or_not1_b32 s4, vcc_lo, exec_lo
.LBB2_98:                               ;   in Loop: Header=BB2_39 Depth=1
	s_or_b32 exec_lo, exec_lo, s3
	s_delay_alu instid0(SALU_CYCLE_1) | instskip(SKIP_1) | instid1(SALU_CYCLE_1)
	s_and_not1_b32 s1, s1, exec_lo
	s_and_b32 s3, s4, exec_lo
	s_or_b32 s1, s1, s3
.LBB2_99:                               ;   in Loop: Header=BB2_39 Depth=1
	s_or_b32 exec_lo, exec_lo, s2
	s_delay_alu instid0(SALU_CYCLE_1)
	s_and_b32 exec_lo, exec_lo, s1
	s_cbranch_execz .LBB2_102
; %bb.100:                              ;   in Loop: Header=BB2_39 Depth=1
	s_mov_b32 s1, 0
.LBB2_101:                              ;   Parent Loop BB2_39 Depth=1
                                        ; =>  This Inner Loop Header: Depth=2
	v_add_nc_u32_e32 v1, s20, v0
	v_add_nc_u32_e32 v0, 0x80, v0
	global_store_b32 v1, v4, s[16:17] scale_offset
	v_cmp_ge_u32_e32 vcc_lo, v0, v5
	s_or_b32 s1, vcc_lo, s1
	s_wait_xcnt 0x0
	s_and_not1_b32 exec_lo, exec_lo, s1
	s_cbranch_execnz .LBB2_101
.LBB2_102:                              ;   in Loop: Header=BB2_39 Depth=1
	s_or_b32 exec_lo, exec_lo, s0
	s_wait_storecnt 0x0
	s_barrier_signal -1
	s_barrier_wait -1
	ds_load_b32 v2, v45 offset:15976
	s_mov_b32 s0, -1
	s_wait_dscnt 0x0
	v_cmp_lt_u32_e32 vcc_lo, 0x100, v2
	s_cbranch_vccz .LBB2_106
; %bb.103:                              ;   in Loop: Header=BB2_39 Depth=1
	s_and_saveexec_b32 s0, s5
	s_cbranch_execz .LBB2_105
; %bb.104:                              ;   in Loop: Header=BB2_39 Depth=1
	ds_load_b32 v0, v45 offset:15364
	v_dual_add_nc_u32 v3, v2, v42 :: v_dual_bitop2_b32 v5, 1, v69 bitop3:0x14
	s_wait_dscnt 0x0
	v_mul_lo_u32 v1, v0, 12
	v_add_nc_u32_e32 v0, 1, v0
	s_delay_alu instid0(VALU_DEP_2)
	v_add_nc_u32_e32 v4, 0x3e2c, v1
	ds_store_b32 v45, v0 offset:15364
	ds_store_2addr_b32 v4, v42, v3 offset1:1
	ds_store_b32 v1, v5 offset:15924
.LBB2_105:                              ;   in Loop: Header=BB2_39 Depth=1
	s_or_b32 exec_lo, exec_lo, s0
	s_mov_b32 s0, 0
	s_wait_dscnt 0x0
	s_barrier_signal -1
	s_barrier_wait -1
.LBB2_106:                              ;   in Loop: Header=BB2_39 Depth=1
	s_and_b32 vcc_lo, exec_lo, s0
	s_cbranch_vccz .LBB2_108
; %bb.107:                              ;   in Loop: Header=BB2_39 Depth=1
	ds_load_b64 v[0:1], v45 offset:15896
	v_dual_mov_b32 v2, s22 :: v_dual_add_nc_u32 v5, v2, v42
	v_dual_mov_b32 v3, s23 :: v_dual_mov_b32 v4, v42
	v_mov_b32_e32 v6, v40
	s_swap_pc_i64 s[30:31], s[18:19]
.LBB2_108:                              ;   in Loop: Header=BB2_39 Depth=1
	ds_load_b32 v2, v45 offset:15892
	s_mov_b32 s0, -1
	s_wait_dscnt 0x0
	v_cmp_lt_u32_e32 vcc_lo, 0x100, v2
	s_cbranch_vccnz .LBB2_110
; %bb.109:                              ;   in Loop: Header=BB2_39 Depth=1
	s_and_b32 vcc_lo, exec_lo, s0
	s_cbranch_vccz .LBB2_38
	s_branch .LBB2_113
.LBB2_110:                              ;   in Loop: Header=BB2_39 Depth=1
	s_and_saveexec_b32 s0, s5
	s_cbranch_execz .LBB2_112
; %bb.111:                              ;   in Loop: Header=BB2_39 Depth=1
	ds_load_b32 v0, v45 offset:15364
	v_dual_sub_nc_u32 v3, v43, v2 :: v_dual_bitop2_b32 v5, 1, v69 bitop3:0x14
	s_wait_dscnt 0x0
	v_mul_lo_u32 v1, v0, 12
	v_add_nc_u32_e32 v0, 1, v0
	s_delay_alu instid0(VALU_DEP_2)
	v_add_nc_u32_e32 v4, 0x3e2c, v1
	ds_store_b32 v45, v0 offset:15364
	ds_store_2addr_b32 v4, v3, v43 offset1:1
	ds_store_b32 v1, v5 offset:15924
.LBB2_112:                              ;   in Loop: Header=BB2_39 Depth=1
	s_or_b32 exec_lo, exec_lo, s0
	s_wait_storecnt_dscnt 0x0
	s_barrier_signal -1
	s_barrier_wait -1
	s_branch .LBB2_38
.LBB2_113:                              ;   in Loop: Header=BB2_39 Depth=1
	ds_load_b64 v[0:1], v45 offset:15896
	v_dual_sub_nc_u32 v4, v43, v2 :: v_dual_mov_b32 v2, s22
	v_dual_mov_b32 v3, s23 :: v_dual_mov_b32 v5, v43
	v_mov_b32_e32 v6, v40
	s_swap_pc_i64 s[30:31], s[18:19]
	s_branch .LBB2_38
.LBB2_114:
	s_endpgm
	.section	.rodata,"a",@progbits
	.p2align	6, 0x0
	.amdhsa_kernel _Z13lqsort_kernelIjEvPT_S1_P11work_recordIS0_E
		.amdhsa_group_segment_fixed_size 15984
		.amdhsa_private_segment_fixed_size 0
		.amdhsa_kernarg_size 280
		.amdhsa_user_sgpr_count 2
		.amdhsa_user_sgpr_dispatch_ptr 0
		.amdhsa_user_sgpr_queue_ptr 0
		.amdhsa_user_sgpr_kernarg_segment_ptr 1
		.amdhsa_user_sgpr_dispatch_id 0
		.amdhsa_user_sgpr_kernarg_preload_length 0
		.amdhsa_user_sgpr_kernarg_preload_offset 0
		.amdhsa_user_sgpr_private_segment_size 0
		.amdhsa_wavefront_size32 1
		.amdhsa_uses_dynamic_stack 0
		.amdhsa_enable_private_segment 0
		.amdhsa_system_sgpr_workgroup_id_x 1
		.amdhsa_system_sgpr_workgroup_id_y 0
		.amdhsa_system_sgpr_workgroup_id_z 0
		.amdhsa_system_sgpr_workgroup_info 0
		.amdhsa_system_vgpr_workitem_id 0
		.amdhsa_next_free_vgpr 70
		.amdhsa_next_free_sgpr 33
		.amdhsa_named_barrier_count 0
		.amdhsa_reserve_vcc 1
		.amdhsa_float_round_mode_32 0
		.amdhsa_float_round_mode_16_64 0
		.amdhsa_float_denorm_mode_32 3
		.amdhsa_float_denorm_mode_16_64 3
		.amdhsa_fp16_overflow 0
		.amdhsa_memory_ordered 1
		.amdhsa_forward_progress 1
		.amdhsa_inst_pref_size 50
		.amdhsa_round_robin_scheduling 0
		.amdhsa_exception_fp_ieee_invalid_op 0
		.amdhsa_exception_fp_denorm_src 0
		.amdhsa_exception_fp_ieee_div_zero 0
		.amdhsa_exception_fp_ieee_overflow 0
		.amdhsa_exception_fp_ieee_underflow 0
		.amdhsa_exception_fp_ieee_inexact 0
		.amdhsa_exception_int_div_zero 0
	.end_amdhsa_kernel
	.section	.text._Z13lqsort_kernelIjEvPT_S1_P11work_recordIS0_E,"axG",@progbits,_Z13lqsort_kernelIjEvPT_S1_P11work_recordIS0_E,comdat
.Lfunc_end2:
	.size	_Z13lqsort_kernelIjEvPT_S1_P11work_recordIS0_E, .Lfunc_end2-_Z13lqsort_kernelIjEvPT_S1_P11work_recordIS0_E
                                        ; -- End function
	.set _Z13lqsort_kernelIjEvPT_S1_P11work_recordIS0_E.num_vgpr, max(70, .L_Z14sort_thresholdIjEvPT_S1_jjS1_j.num_vgpr)
	.set _Z13lqsort_kernelIjEvPT_S1_P11work_recordIS0_E.num_agpr, max(0, .L_Z14sort_thresholdIjEvPT_S1_jjS1_j.num_agpr)
	.set _Z13lqsort_kernelIjEvPT_S1_P11work_recordIS0_E.numbered_sgpr, max(33, .L_Z14sort_thresholdIjEvPT_S1_jjS1_j.numbered_sgpr)
	.set _Z13lqsort_kernelIjEvPT_S1_P11work_recordIS0_E.num_named_barrier, max(0, .L_Z14sort_thresholdIjEvPT_S1_jjS1_j.num_named_barrier)
	.set _Z13lqsort_kernelIjEvPT_S1_P11work_recordIS0_E.private_seg_size, 0+max(.L_Z14sort_thresholdIjEvPT_S1_jjS1_j.private_seg_size)
	.set _Z13lqsort_kernelIjEvPT_S1_P11work_recordIS0_E.uses_vcc, or(1, .L_Z14sort_thresholdIjEvPT_S1_jjS1_j.uses_vcc)
	.set _Z13lqsort_kernelIjEvPT_S1_P11work_recordIS0_E.uses_flat_scratch, or(1, .L_Z14sort_thresholdIjEvPT_S1_jjS1_j.uses_flat_scratch)
	.set _Z13lqsort_kernelIjEvPT_S1_P11work_recordIS0_E.has_dyn_sized_stack, or(0, .L_Z14sort_thresholdIjEvPT_S1_jjS1_j.has_dyn_sized_stack)
	.set _Z13lqsort_kernelIjEvPT_S1_P11work_recordIS0_E.has_recursion, or(0, .L_Z14sort_thresholdIjEvPT_S1_jjS1_j.has_recursion)
	.set _Z13lqsort_kernelIjEvPT_S1_P11work_recordIS0_E.has_indirect_call, or(0, .L_Z14sort_thresholdIjEvPT_S1_jjS1_j.has_indirect_call)
	.section	.AMDGPU.csdata,"",@progbits
; Kernel info:
; codeLenInByte = 6364
; TotalNumSgprs: 35
; NumVgprs: 70
; ScratchSize: 0
; MemoryBound: 0
; FloatMode: 240
; IeeeMode: 1
; LDSByteSize: 15984 bytes/workgroup (compile time only)
; SGPRBlocks: 0
; VGPRBlocks: 4
; NumSGPRsForWavesPerEU: 35
; NumVGPRsForWavesPerEU: 70
; NamedBarCnt: 0
; Occupancy: 12
; WaveLimiterHint : 1
; COMPUTE_PGM_RSRC2:SCRATCH_EN: 0
; COMPUTE_PGM_RSRC2:USER_SGPR: 2
; COMPUTE_PGM_RSRC2:TRAP_HANDLER: 0
; COMPUTE_PGM_RSRC2:TGID_X_EN: 1
; COMPUTE_PGM_RSRC2:TGID_Y_EN: 0
; COMPUTE_PGM_RSRC2:TGID_Z_EN: 0
; COMPUTE_PGM_RSRC2:TIDIG_COMP_CNT: 0
	.section	.text._Z13gqsort_kernelIfEvPT_S1_P12block_recordIS0_EP13parent_recordP11work_recordIS0_E,"axG",@progbits,_Z13gqsort_kernelIfEvPT_S1_P12block_recordIS0_EP13parent_recordP11work_recordIS0_E,comdat
	.protected	_Z13gqsort_kernelIfEvPT_S1_P12block_recordIS0_EP13parent_recordP11work_recordIS0_E ; -- Begin function _Z13gqsort_kernelIfEvPT_S1_P12block_recordIS0_EP13parent_recordP11work_recordIS0_E
	.globl	_Z13gqsort_kernelIfEvPT_S1_P12block_recordIS0_EP13parent_recordP11work_recordIS0_E
	.p2align	8
	.type	_Z13gqsort_kernelIfEvPT_S1_P12block_recordIS0_EP13parent_recordP11work_recordIS0_E,@function
_Z13gqsort_kernelIfEvPT_S1_P12block_recordIS0_EP13parent_recordP11work_recordIS0_E: ; @_Z13gqsort_kernelIfEvPT_S1_P12block_recordIS0_EP13parent_recordP11work_recordIS0_E
; %bb.0:
	s_load_b256 s[12:19], s[0:1], 0x0
	s_bfe_u32 s2, ttmp6, 0x4000c
	s_and_b32 s3, ttmp6, 15
	s_add_co_i32 s2, s2, 1
	s_getreg_b32 s4, hwreg(HW_REG_IB_STS2, 6, 4)
	s_mul_i32 s2, ttmp9, s2
	s_mov_b32 s21, 0
	s_add_co_i32 s3, s3, s2
	s_cmp_eq_u32 s4, 0
	v_dual_mov_b32 v3, 0 :: v_dual_lshlrev_b32 v8, 2, v0
	s_cselect_b32 s20, ttmp9, s3
	v_mov_b32_e32 v4, 0
	s_mul_u64 s[2:3], s[20:21], 20
	s_delay_alu instid0(VALU_DEP_2)
	v_add_nc_u32_e32 v1, 0x210, v8
	s_wait_kmcnt 0x0
	s_add_nc_u64 s[2:3], s[16:17], s[2:3]
	s_clause 0x1
	s_load_b128 s[8:11], s[2:3], 0x0
	s_load_b32 s22, s[2:3], 0x10
	ds_store_2addr_b32 v8, v3, v3 offset1:132
	s_wait_dscnt 0x0
	s_barrier_signal -1
	s_barrier_wait -1
	s_wait_kmcnt 0x0
	v_add_nc_u32_e32 v2, s8, v0
	s_cmp_eq_u32 s11, 1
	s_cselect_b32 s21, -1, 0
	s_delay_alu instid0(SALU_CYCLE_1) | instskip(NEXT) | instid1(VALU_DEP_1)
	s_and_b32 s2, s21, exec_lo
	v_cmp_gt_u32_e32 vcc_lo, s9, v2
	s_cselect_b32 s17, s13, s15
	s_cselect_b32 s16, s12, s14
	s_and_saveexec_b32 s4, vcc_lo
	s_cbranch_execz .LBB3_12
; %bb.1:
	v_add_max_u32_e64 v7, 0x80, v2, s9
	v_mov_b32_e32 v5, v2
	s_mov_b32 s3, -1
	s_mov_b32 s6, exec_lo
	v_mov_b32_e32 v4, 0
	v_xad_u32 v3, v0, -1, v7
	s_delay_alu instid0(VALU_DEP_1) | instskip(SKIP_1) | instid1(VALU_DEP_2)
	v_subrev_nc_u32_e32 v6, s8, v3
	v_mov_b32_e32 v3, 0
	v_cmp_gt_u32_e64 s5, 0x880, v6
	v_cmpx_lt_u32_e32 0x87f, v6
	s_cbranch_execz .LBB3_7
; %bb.2:
	v_dual_mov_b32 v4, 0 :: v_dual_sub_nc_u32 v3, v0, v7
	s_delay_alu instid0(VALU_DEP_1) | instskip(NEXT) | instid1(VALU_DEP_1)
	v_add_nc_u32_e32 v3, s8, v3
	v_or_b32_e32 v5, 0x7f, v3
	v_mov_b32_e32 v3, 0
	s_delay_alu instid0(VALU_DEP_2)
	v_cmp_ge_u32_e64 s2, v5, v2
	v_mov_b32_e32 v5, v2
	s_and_saveexec_b32 s7, s2
	s_cbranch_execz .LBB3_6
; %bb.3:
	v_dual_lshrrev_b32 v3, 7, v6 :: v_dual_mov_b32 v5, 0
	s_mov_b32 s8, s10
	s_mov_b32 s24, s10
	;; [unrolled: 1-line block ×3, first 2 shown]
	s_delay_alu instid0(VALU_DEP_1) | instskip(SKIP_1) | instid1(VALU_DEP_2)
	v_dual_add_nc_u32 v9, 1, v3 :: v_dual_mov_b32 v11, 0
	v_dual_mov_b32 v12, 0 :: v_dual_add_nc_u32 v3, 0x80, v2
	v_and_b32_e32 v10, 0x3fffffe, v9
	v_mov_b32_e32 v13, 0
	s_delay_alu instid0(VALU_DEP_3) | instskip(NEXT) | instid1(VALU_DEP_3)
	v_mov_b64_e32 v[6:7], v[2:3]
	v_dual_mov_b32 v3, 0 :: v_dual_mov_b32 v14, v10
.LBB3_4:                                ; =>This Inner Loop Header: Depth=1
	s_delay_alu instid0(VALU_DEP_1) | instskip(SKIP_1) | instid1(VALU_DEP_2)
	v_dual_mov_b32 v4, v6 :: v_dual_add_nc_u32 v14, -2, v14
	v_add_nc_u32_e32 v6, 0x100, v6
	v_lshl_add_u64 v[16:17], v[4:5], 2, s[16:17]
	v_dual_mov_b32 v4, v7 :: v_dual_add_nc_u32 v7, 0x100, v7
	s_delay_alu instid0(VALU_DEP_4) | instskip(NEXT) | instid1(VALU_DEP_2)
	v_cmp_eq_u32_e64 s2, 0, v14
	v_lshl_add_u64 v[18:19], v[4:5], 2, s[16:17]
	s_clause 0x1
	global_load_b32 v4, v[16:17], off
	global_load_b32 v15, v[18:19], off
	s_or_b32 s23, s2, s23
	s_wait_loadcnt 0x1
	v_cvt_u32_f32_e32 v4, v4
	s_wait_loadcnt 0x0
	v_cvt_u32_f32_e32 v15, v15
	s_delay_alu instid0(VALU_DEP_2) | instskip(NEXT) | instid1(VALU_DEP_2)
	v_cvt_f32_u32_e32 v4, v4
	v_cvt_f32_u32_e32 v15, v15
	s_delay_alu instid0(VALU_DEP_2) | instskip(NEXT) | instid1(VALU_DEP_1)
	v_cmp_gt_f32_e64 s3, s8, v4
	v_add_co_ci_u32_e64 v3, null, 0, v3, s3
	v_cmp_lt_f32_e64 s3, s8, v4
	s_delay_alu instid0(VALU_DEP_1) | instskip(SKIP_1) | instid1(VALU_DEP_1)
	v_add_co_ci_u32_e64 v12, null, 0, v12, s3
	v_cmp_gt_f32_e64 s3, s24, v15
	v_add_co_ci_u32_e64 v11, null, 0, v11, s3
	v_cmp_lt_f32_e64 s3, s24, v15
	s_delay_alu instid0(VALU_DEP_1)
	v_add_co_ci_u32_e64 v13, null, 0, v13, s3
	s_and_not1_b32 exec_lo, exec_lo, s23
	s_cbranch_execnz .LBB3_4
; %bb.5:
	s_or_b32 exec_lo, exec_lo, s23
	v_cmp_ne_u32_e64 s2, v9, v10
	v_lshl_add_u32 v5, v10, 7, v2
	v_dual_add_nc_u32 v4, v3, v11 :: v_dual_add_nc_u32 v3, v12, v13
	s_or_not1_b32 s3, s2, exec_lo
.LBB3_6:
	s_or_b32 exec_lo, exec_lo, s7
	s_delay_alu instid0(SALU_CYCLE_1) | instskip(SKIP_1) | instid1(SALU_CYCLE_1)
	s_and_not1_b32 s2, s5, exec_lo
	s_and_b32 s3, s3, exec_lo
	s_or_b32 s5, s2, s3
.LBB3_7:
	s_or_b32 exec_lo, exec_lo, s6
	s_and_saveexec_b32 s6, s5
	s_cbranch_execz .LBB3_11
; %bb.8:
	s_mov_b32 s5, 0
.LBB3_9:                                ; =>This Inner Loop Header: Depth=1
	global_load_b32 v6, v5, s[16:17] scale_offset
	s_wait_xcnt 0x0
	v_add_nc_u32_e32 v5, 0x80, v5
	s_delay_alu instid0(VALU_DEP_1) | instskip(SKIP_3) | instid1(VALU_DEP_1)
	v_cmp_le_u32_e64 s2, s9, v5
	s_or_b32 s5, s2, s5
	s_wait_loadcnt 0x0
	v_cvt_u32_f32_e32 v6, v6
	v_cvt_f32_u32_e32 v6, v6
	s_delay_alu instid0(VALU_DEP_1) | instskip(NEXT) | instid1(VALU_DEP_1)
	v_cmp_gt_f32_e64 s3, s10, v6
	v_add_co_ci_u32_e64 v4, null, 0, v4, s3
	v_cmp_lt_f32_e64 s3, s10, v6
	s_delay_alu instid0(VALU_DEP_1)
	v_add_co_ci_u32_e64 v3, null, 0, v3, s3
	s_and_not1_b32 exec_lo, exec_lo, s5
	s_cbranch_execnz .LBB3_9
; %bb.10:
	s_or_b32 exec_lo, exec_lo, s5
.LBB3_11:
	s_delay_alu instid0(SALU_CYCLE_1)
	s_or_b32 exec_lo, exec_lo, s6
.LBB3_12:
	s_delay_alu instid0(SALU_CYCLE_1)
	s_or_b32 exec_lo, exec_lo, s4
	v_and_b32_e32 v5, 1, v0
	ds_store_b32 v1, v4
	ds_store_b32 v8, v3
	v_dual_add_nc_u32 v3, -4, v1 :: v_dual_add_nc_u32 v4, -4, v8
	s_wait_dscnt 0x0
	v_cmp_eq_u32_e64 s2, 1, v5
	s_barrier_signal -1
	s_barrier_wait -1
	s_and_saveexec_b32 s3, s2
	s_cbranch_execz .LBB3_14
; %bb.13:
	ds_load_2addr_b32 v[6:7], v3 offset1:1
	ds_load_2addr_b32 v[10:11], v4 offset1:1
	s_wait_dscnt 0x1
	v_add_nc_u32_e32 v5, v7, v6
	s_wait_dscnt 0x0
	v_add_nc_u32_e32 v6, v11, v10
	ds_store_b32 v1, v5
	ds_store_b32 v8, v6
.LBB3_14:
	s_or_b32 exec_lo, exec_lo, s3
	v_dual_add_nc_u32 v5, -8, v1 :: v_dual_bitop2_b32 v6, 3, v0 bitop3:0x40
	s_wait_dscnt 0x0
	s_barrier_signal -1
	s_barrier_wait -1
	s_delay_alu instid0(VALU_DEP_1)
	v_cmp_eq_u32_e64 s3, 3, v6
	v_add_nc_u32_e32 v6, -8, v8
	s_and_saveexec_b32 s4, s3
	s_cbranch_execz .LBB3_16
; %bb.15:
	ds_load_b32 v7, v5
	ds_load_b32 v9, v6
	;; [unrolled: 1-line block ×4, first 2 shown]
	s_wait_dscnt 0x0
	v_dual_add_nc_u32 v7, v10, v7 :: v_dual_add_nc_u32 v9, v11, v9
	ds_store_b32 v1, v7
	ds_store_b32 v8, v9
.LBB3_16:
	s_or_b32 exec_lo, exec_lo, s4
	v_dual_add_nc_u32 v7, -16, v1 :: v_dual_bitop2_b32 v9, 7, v0 bitop3:0x40
	s_wait_dscnt 0x0
	s_barrier_signal -1
	s_barrier_wait -1
	s_delay_alu instid0(VALU_DEP_1)
	v_cmp_eq_u32_e64 s4, 7, v9
	v_add_nc_u32_e32 v9, -16, v8
	s_and_saveexec_b32 s5, s4
	s_cbranch_execz .LBB3_18
; %bb.17:
	ds_load_b32 v10, v7
	ds_load_b32 v11, v9
	;; [unrolled: 1-line block ×4, first 2 shown]
	s_wait_dscnt 0x0
	v_dual_add_nc_u32 v10, v12, v10 :: v_dual_add_nc_u32 v11, v13, v11
	ds_store_b32 v1, v10
	ds_store_b32 v8, v11
.LBB3_18:
	s_or_b32 exec_lo, exec_lo, s5
	v_and_b32_e32 v11, 15, v0
	v_subrev_nc_u32_e32 v10, 32, v1
	s_wait_dscnt 0x0
	s_barrier_signal -1
	s_barrier_wait -1
	v_cmp_eq_u32_e64 s5, 15, v11
	v_subrev_nc_u32_e32 v11, 32, v8
	s_and_saveexec_b32 s6, s5
	s_cbranch_execz .LBB3_20
; %bb.19:
	ds_load_b32 v12, v10
	ds_load_b32 v13, v11
	;; [unrolled: 1-line block ×4, first 2 shown]
	s_wait_dscnt 0x0
	v_dual_add_nc_u32 v12, v14, v12 :: v_dual_add_nc_u32 v13, v15, v13
	ds_store_b32 v1, v12
	ds_store_b32 v8, v13
.LBB3_20:
	s_or_b32 exec_lo, exec_lo, s6
	v_and_b32_e32 v13, 31, v0
	v_subrev_nc_u32_e32 v12, 64, v1
	s_wait_dscnt 0x0
	s_barrier_signal -1
	s_barrier_wait -1
	v_cmp_eq_u32_e64 s6, 31, v13
	v_subrev_nc_u32_e32 v13, 64, v8
	s_and_saveexec_b32 s7, s6
	s_cbranch_execz .LBB3_22
; %bb.21:
	ds_load_b32 v14, v12
	ds_load_b32 v15, v13
	;; [unrolled: 1-line block ×4, first 2 shown]
	s_wait_dscnt 0x0
	v_dual_add_nc_u32 v14, v16, v14 :: v_dual_add_nc_u32 v15, v17, v15
	ds_store_b32 v1, v14
	ds_store_b32 v8, v15
.LBB3_22:
	s_or_b32 exec_lo, exec_lo, s7
	v_and_b32_e32 v15, 63, v0
	v_add_nc_u32_e32 v14, 0xffffff80, v1
	s_wait_dscnt 0x0
	s_barrier_signal -1
	s_barrier_wait -1
	v_cmp_eq_u32_e64 s7, 63, v15
	v_add_nc_u32_e32 v15, 0xffffff80, v8
	s_and_saveexec_b32 s8, s7
	s_cbranch_execz .LBB3_24
; %bb.23:
	ds_load_b32 v16, v14
	ds_load_b32 v17, v15
	;; [unrolled: 1-line block ×4, first 2 shown]
	s_wait_dscnt 0x0
	v_dual_add_nc_u32 v16, v18, v16 :: v_dual_add_nc_u32 v17, v19, v17
	ds_store_b32 v1, v16
	ds_store_b32 v8, v17
.LBB3_24:
	s_or_b32 exec_lo, exec_lo, s8
	v_and_b32_e32 v17, 0x7f, v0
	v_add_nc_u32_e32 v16, 0xffffff00, v1
	s_wait_dscnt 0x0
	s_barrier_signal -1
	s_barrier_wait -1
	v_cmp_eq_u32_e64 s8, 0x7f, v17
	v_add_nc_u32_e32 v17, 0xffffff00, v8
	s_and_saveexec_b32 s23, s8
	s_cbranch_execz .LBB3_26
; %bb.25:
	ds_load_b32 v18, v16
	ds_load_b32 v19, v17
	;; [unrolled: 1-line block ×4, first 2 shown]
	s_wait_dscnt 0x0
	v_dual_add_nc_u32 v18, v20, v18 :: v_dual_add_nc_u32 v19, v21, v19
	ds_store_b32 v1, v18
	ds_store_b32 v8, v19
.LBB3_26:
	s_or_b32 exec_lo, exec_lo, s23
	s_wait_dscnt 0x0
	s_barrier_signal -1
	s_barrier_wait -1
	s_and_saveexec_b32 s23, s8
	s_cbranch_execz .LBB3_28
; %bb.27:
	ds_load_b32 v18, v1
	ds_load_b32 v20, v8
	s_wait_dscnt 0x1
	v_dual_mov_b32 v21, 0 :: v_dual_mov_b32 v19, v18
	s_wait_dscnt 0x0
	ds_store_2addr_b32 v21, v20, v20 offset0:128 offset1:131
	ds_store_b64 v21, v[18:19] offset:1040
	ds_store_b32 v1, v21
	ds_store_b32 v8, v21
.LBB3_28:
	s_or_b32 exec_lo, exec_lo, s23
	s_and_saveexec_b32 s23, s8
	s_cbranch_execz .LBB3_30
; %bb.29:
	ds_load_b32 v18, v16
	ds_load_b32 v19, v17
	ds_load_b32 v20, v1
	ds_load_b32 v21, v8
	s_wait_dscnt 0x0
	v_dual_add_nc_u32 v18, v20, v18 :: v_dual_add_nc_u32 v19, v21, v19
	ds_store_b32 v16, v20
	ds_store_b32 v17, v21
	ds_store_b32 v1, v18
	ds_store_b32 v8, v19
.LBB3_30:
	s_or_b32 exec_lo, exec_lo, s23
	s_wait_dscnt 0x0
	s_barrier_signal -1
	s_barrier_wait -1
	s_and_saveexec_b32 s8, s7
	s_cbranch_execz .LBB3_32
; %bb.31:
	ds_load_b32 v16, v14
	ds_load_b32 v17, v15
	ds_load_b32 v18, v1
	ds_load_b32 v19, v8
	s_wait_dscnt 0x0
	v_dual_add_nc_u32 v16, v18, v16 :: v_dual_add_nc_u32 v17, v19, v17
	ds_store_b32 v14, v18
	ds_store_b32 v15, v19
	ds_store_b32 v1, v16
	ds_store_b32 v8, v17
.LBB3_32:
	s_or_b32 exec_lo, exec_lo, s8
	s_wait_dscnt 0x0
	s_barrier_signal -1
	s_barrier_wait -1
	s_and_saveexec_b32 s7, s6
	s_cbranch_execz .LBB3_34
; %bb.33:
	ds_load_b32 v14, v12
	ds_load_b32 v15, v13
	ds_load_b32 v16, v1
	ds_load_b32 v17, v8
	s_wait_dscnt 0x0
	v_dual_add_nc_u32 v14, v16, v14 :: v_dual_add_nc_u32 v15, v17, v15
	ds_store_b32 v12, v16
	ds_store_b32 v13, v17
	ds_store_b32 v1, v14
	ds_store_b32 v8, v15
.LBB3_34:
	s_or_b32 exec_lo, exec_lo, s7
	s_wait_dscnt 0x0
	s_barrier_signal -1
	s_barrier_wait -1
	s_and_saveexec_b32 s6, s5
	s_cbranch_execz .LBB3_36
; %bb.35:
	ds_load_b32 v12, v10
	ds_load_b32 v13, v11
	ds_load_b32 v14, v1
	ds_load_b32 v15, v8
	s_wait_dscnt 0x0
	v_dual_add_nc_u32 v12, v14, v12 :: v_dual_add_nc_u32 v13, v15, v13
	ds_store_b32 v10, v14
	ds_store_b32 v11, v15
	ds_store_b32 v1, v12
	ds_store_b32 v8, v13
.LBB3_36:
	s_or_b32 exec_lo, exec_lo, s6
	s_wait_dscnt 0x0
	s_barrier_signal -1
	s_barrier_wait -1
	s_and_saveexec_b32 s5, s4
	s_cbranch_execz .LBB3_38
; %bb.37:
	ds_load_b32 v10, v7
	ds_load_b32 v11, v9
	;; [unrolled: 1-line block ×4, first 2 shown]
	s_wait_dscnt 0x0
	v_dual_add_nc_u32 v10, v12, v10 :: v_dual_add_nc_u32 v11, v13, v11
	ds_store_b32 v7, v12
	ds_store_b32 v9, v13
	;; [unrolled: 1-line block ×4, first 2 shown]
.LBB3_38:
	s_or_b32 exec_lo, exec_lo, s5
	s_load_b64 s[4:5], s[0:1], 0x20
	s_wait_dscnt 0x0
	s_barrier_signal -1
	s_barrier_wait -1
	s_wait_xcnt 0x0
	s_and_saveexec_b32 s0, s3
	s_cbranch_execz .LBB3_40
; %bb.39:
	ds_load_b32 v7, v5
	ds_load_b32 v9, v6
	;; [unrolled: 1-line block ×4, first 2 shown]
	s_wait_dscnt 0x0
	v_dual_add_nc_u32 v7, v10, v7 :: v_dual_add_nc_u32 v9, v11, v9
	ds_store_b32 v5, v10
	ds_store_b32 v6, v11
	;; [unrolled: 1-line block ×4, first 2 shown]
.LBB3_40:
	s_or_b32 exec_lo, exec_lo, s0
	s_wait_dscnt 0x0
	s_barrier_signal -1
	s_barrier_wait -1
	s_and_saveexec_b32 s0, s2
	s_cbranch_execz .LBB3_42
; %bb.41:
	ds_load_2addr_b32 v[6:7], v3 offset1:1
	ds_load_2addr_b32 v[10:11], v4 offset1:1
	s_wait_dscnt 0x1
	v_add_nc_u32_e32 v5, v7, v6
	s_wait_dscnt 0x0
	v_add_nc_u32_e32 v6, v11, v10
	ds_store_2addr_b32 v3, v7, v5 offset1:1
	ds_store_2addr_b32 v4, v11, v6 offset1:1
.LBB3_42:
	s_or_b32 exec_lo, exec_lo, s0
	v_cmp_eq_u32_e64 s0, 0, v0
	s_mov_b32 s23, 0
	s_wait_dscnt 0x0
	s_barrier_signal -1
	s_barrier_wait -1
                                        ; implicit-def: $sgpr30_sgpr31
                                        ; implicit-def: $sgpr28_sgpr29
                                        ; implicit-def: $sgpr26_sgpr27
                                        ; implicit-def: $sgpr24_sgpr25
                                        ; implicit-def: $sgpr6_sgpr7
	s_and_saveexec_b32 s2, s0
	s_cbranch_execz .LBB3_48
; %bb.43:
	v_mov_b32_e32 v0, 0
	s_mov_b32 s3, exec_lo
	s_mul_u64 s[6:7], s[22:23], 20
	v_mbcnt_lo_u32_b32 v5, s3, 0
	s_add_nc_u64 s[6:7], s[18:19], s[6:7]
	ds_load_b32 v4, v0 offset:1044
	s_mov_b32 s8, exec_lo
                                        ; implicit-def: $vgpr6
	v_cmpx_eq_u32_e32 0, v5
	s_cbranch_execz .LBB3_45
; %bb.44:
	s_bcnt1_i32_b32 s1, s3
	s_wait_dscnt 0x0
	v_mul_lo_u32 v3, v4, s1
	global_atomic_add_u32 v6, v0, v3, s[6:7] th:TH_ATOMIC_RETURN scope:SCOPE_DEV
.LBB3_45:
	s_wait_xcnt 0x0
	s_or_b32 exec_lo, exec_lo, s8
	ds_load_b32 v3, v0 offset:524
	s_wait_loadcnt 0x0
	v_readfirstlane_b32 s1, v6
	s_mov_b32 s3, exec_lo
	s_add_nc_u64 s[24:25], s[6:7], 4
	s_mov_b32 s8, exec_lo
	s_wait_dscnt 0x1
	v_mad_u32 v6, v4, v5, s1
	v_mbcnt_lo_u32_b32 v4, s3, 0
	ds_store_b32 v0, v6 offset:520
                                        ; implicit-def: $vgpr0
	s_wait_dscnt 0x1
	v_sub_nc_u32_e32 v5, 0, v3
	v_cmpx_eq_u32_e32 0, v4
	s_cbranch_execz .LBB3_47
; %bb.46:
	s_bcnt1_i32_b32 s1, s3
	v_mov_b32_e32 v6, 0
	v_mul_lo_u32 v0, v5, s1
	global_atomic_add_u32 v0, v6, v0, s[24:25] th:TH_ATOMIC_RETURN scope:SCOPE_DEV
.LBB3_47:
	s_wait_xcnt 0x0
	s_or_b32 exec_lo, exec_lo, s8
	s_wait_loadcnt 0x0
	v_readfirstlane_b32 s1, v0
	s_add_nc_u64 s[26:27], s[6:7], 8
	s_add_nc_u64 s[28:29], s[6:7], 12
	;; [unrolled: 1-line block ×3, first 2 shown]
	v_mad_u32 v0, v5, v4, s1
	s_delay_alu instid0(VALU_DEP_1)
	v_dual_mov_b32 v3, 0 :: v_dual_sub_nc_u32 v0, v0, v3
	ds_store_b32 v3, v0 offset:516
.LBB3_48:
	s_or_b32 exec_lo, exec_lo, s2
	s_delay_alu instid0(SALU_CYCLE_1)
	s_and_b32 s1, s21, exec_lo
	s_cselect_b32 s3, s15, s13
	s_cselect_b32 s2, s14, s12
	s_wait_dscnt 0x0
	s_barrier_signal -1
	s_barrier_wait -1
	s_and_saveexec_b32 s1, vcc_lo
	s_cbranch_execz .LBB3_55
; %bb.49:
	v_mov_b32_e32 v0, 0
	s_mov_b32 s8, 0
	ds_load_b32 v3, v8
	ds_load_2addr_b32 v[4:5], v0 offset0:129 offset1:130
	ds_load_b32 v1, v1
	s_wait_dscnt 0x0
	v_dual_add_nc_u32 v0, v3, v4 :: v_dual_add_nc_u32 v1, v1, v5
	s_branch .LBB3_51
.LBB3_50:                               ;   in Loop: Header=BB3_51 Depth=1
	s_or_b32 exec_lo, exec_lo, s14
	v_add_nc_u32_e32 v2, 0x80, v2
	s_delay_alu instid0(VALU_DEP_1) | instskip(SKIP_1) | instid1(SALU_CYCLE_1)
	v_cmp_le_u32_e32 vcc_lo, s9, v2
	s_or_b32 s8, vcc_lo, s8
	s_and_not1_b32 exec_lo, exec_lo, s8
	s_cbranch_execz .LBB3_55
.LBB3_51:                               ; =>This Inner Loop Header: Depth=1
	global_load_b32 v3, v2, s[16:17] scale_offset
	s_mov_b32 s14, exec_lo
	s_wait_loadcnt 0x0
	v_cvt_u32_f32_e32 v3, v3
	s_delay_alu instid0(VALU_DEP_1) | instskip(SKIP_1) | instid1(VALU_DEP_1)
	v_cvt_f32_u32_e32 v3, v3
	s_wait_xcnt 0x0
	v_cmpx_gt_f32_e32 s10, v3
	s_cbranch_execz .LBB3_53
; %bb.52:                               ;   in Loop: Header=BB3_51 Depth=1
	v_add_nc_u32_e32 v4, 1, v1
	global_store_b32 v1, v3, s[2:3] scale_offset
	s_wait_xcnt 0x0
	v_mov_b32_e32 v1, v4
.LBB3_53:                               ;   in Loop: Header=BB3_51 Depth=1
	s_or_b32 exec_lo, exec_lo, s14
	s_delay_alu instid0(SALU_CYCLE_1)
	s_mov_b32 s14, exec_lo
	v_cmpx_lt_f32_e32 s10, v3
	s_cbranch_execz .LBB3_50
; %bb.54:                               ;   in Loop: Header=BB3_51 Depth=1
	v_add_nc_u32_e32 v4, 1, v0
	global_store_b32 v0, v3, s[2:3] scale_offset
	s_wait_xcnt 0x0
	v_mov_b32_e32 v0, v4
	s_branch .LBB3_50
.LBB3_55:
	s_or_b32 exec_lo, exec_lo, s1
	s_wait_storecnt 0x0
	s_barrier_signal -1
	s_barrier_wait -1
	s_and_saveexec_b32 s1, s0
	s_cbranch_execz .LBB3_72
; %bb.56:
	s_mov_b32 s1, exec_lo
	s_mov_b32 s0, exec_lo
	v_mbcnt_lo_u32_b32 v0, s1, 0
                                        ; implicit-def: $vgpr1
	s_delay_alu instid0(VALU_DEP_1)
	v_cmpx_eq_u32_e32 0, v0
	s_cbranch_execz .LBB3_58
; %bb.57:
	s_bcnt1_i32_b32 s1, s1
	s_delay_alu instid0(SALU_CYCLE_1) | instskip(NEXT) | instid1(SALU_CYCLE_1)
	s_sub_co_i32 s1, 0, s1
	v_dual_mov_b32 v1, 0 :: v_dual_mov_b32 v2, s1
	global_atomic_add_u32 v1, v1, v2, s[30:31] th:TH_ATOMIC_RETURN scope:SCOPE_DEV
.LBB3_58:
	s_wait_xcnt 0x0
	s_or_b32 exec_lo, exec_lo, s0
	s_wait_loadcnt 0x0
	v_readfirstlane_b32 s0, v1
	s_delay_alu instid0(VALU_DEP_1) | instskip(NEXT) | instid1(VALU_DEP_1)
	v_sub_nc_u32_e32 v0, s0, v0
	v_cmp_eq_u32_e32 vcc_lo, 0, v0
	s_and_b32 exec_lo, exec_lo, vcc_lo
	s_cbranch_execz .LBB3_72
; %bb.59:
	v_mov_b32_e32 v0, 0
	s_clause 0x3
	global_load_b32 v2, v0, s[6:7]
	global_load_b32 v3, v0, s[24:25]
	;; [unrolled: 1-line block ×4, first 2 shown]
	s_wait_loadcnt 0x3
	v_readfirstlane_b32 s9, v2
	s_wait_loadcnt 0x2
	v_cmp_le_u32_e32 vcc_lo, v3, v2
	v_readfirstlane_b32 s8, v3
	s_cbranch_vccnz .LBB3_67
; %bb.60:
	s_sub_co_i32 s6, s8, s9
	s_mov_b32 s1, -1
	s_cmp_lt_u32 s6, 2
	s_mov_b32 s0, s9
	s_cbranch_scc1 .LBB3_64
; %bb.61:
	s_mov_b32 s0, s10
	s_mov_b32 s1, s10
	s_wait_xcnt 0x0
	v_mov_b32_e32 v0, 0
	v_mov_b64_e32 v[2:3], s[0:1]
	s_and_b32 s7, s6, -2
	s_mov_b32 s1, 0
	s_mov_b32 s0, s9
	s_mov_b32 s14, s7
.LBB3_62:                               ; =>This Inner Loop Header: Depth=1
	s_wait_xcnt 0x0
	s_lshl_b64 s[16:17], s[0:1], 2
	s_add_co_i32 s14, s14, -2
	s_add_co_i32 s0, s0, 2
	s_add_nc_u64 s[16:17], s[12:13], s[16:17]
	s_cmp_lg_u32 s14, 0
	global_store_b64 v0, v[2:3], s[16:17]
	s_cbranch_scc1 .LBB3_62
; %bb.63:
	s_add_co_i32 s0, s9, s7
	s_cmp_lg_u32 s6, s7
	s_cselect_b32 s1, -1, 0
.LBB3_64:
	s_delay_alu instid0(SALU_CYCLE_1)
	s_and_b32 vcc_lo, exec_lo, s1
	s_cbranch_vccz .LBB3_67
; %bb.65:
	s_mov_b32 s1, 0
	s_wait_xcnt 0x0
	v_dual_mov_b32 v0, 0 :: v_dual_mov_b32 v2, s10
	s_lshl_b64 s[6:7], s[0:1], 2
	s_delay_alu instid0(SALU_CYCLE_1)
	s_add_nc_u64 s[6:7], s[12:13], s[6:7]
.LBB3_66:                               ; =>This Inner Loop Header: Depth=1
	s_add_co_i32 s0, s0, 1
	global_store_b32 v0, v2, s[6:7]
	s_cmp_lt_u32 s0, s8
	s_wait_xcnt 0x0
	s_add_nc_u64 s[6:7], s[6:7], 4
	s_cbranch_scc1 .LBB3_66
.LBB3_67:
	s_wait_loadcnt 0x0
	v_add_nc_u32_e32 v0, -1, v1
	v_cmp_le_u32_e32 vcc_lo, s9, v4
	s_clause 0x1
	global_load_b32 v3, v4, s[2:3] scale_offset
	global_load_b32 v2, v0, s[2:3] scale_offset
	s_wait_loadcnt 0x1
	s_wait_xcnt 0x0
	v_cvt_u32_f32_e32 v0, v3
	s_cbranch_vccnz .LBB3_69
; %bb.68:
	s_add_co_i32 s0, s9, -1
	s_delay_alu instid0(SALU_CYCLE_1) | instskip(NEXT) | instid1(VALU_DEP_1)
	v_dual_add_nc_u32 v3, s9, v4 :: v_dual_mov_b32 v5, s0
	v_lshrrev_b32_e32 v3, 1, v3
	s_clause 0x1
	global_load_b32 v6, v3, s[2:3] scale_offset
	global_load_b32 v7, v5, s[2:3] scale_offset
	s_wait_loadcnt 0x1
	s_wait_xcnt 0x1
	v_cvt_u32_f32_e32 v3, v6
	s_wait_loadcnt 0x0
	v_cvt_u32_f32_e32 v5, v7
	s_delay_alu instid0(VALU_DEP_2) | instskip(SKIP_1) | instid1(VALU_DEP_2)
	v_min_u32_e32 v6, v0, v3
	v_max_u32_e32 v0, v0, v3
	v_max_u32_e32 v3, v6, v5
	s_delay_alu instid0(VALU_DEP_2) | instskip(NEXT) | instid1(VALU_DEP_2)
	v_cmp_lt_u32_e32 vcc_lo, v0, v5
	v_cndmask_b32_e32 v0, v3, v0, vcc_lo
.LBB3_69:
	v_cmp_ge_u32_e32 vcc_lo, s8, v1
	s_wait_loadcnt 0x0
	v_cvt_u32_f32_e32 v2, v2
	s_cbranch_vccnz .LBB3_71
; %bb.70:
	v_dual_add_nc_u32 v3, s8, v1 :: v_dual_mov_b32 v5, s8
	s_delay_alu instid0(VALU_DEP_1)
	v_lshrrev_b32_e32 v3, 1, v3
	s_clause 0x1
	global_load_b32 v6, v5, s[2:3] scale_offset
	global_load_b32 v7, v3, s[2:3] scale_offset
	s_wait_loadcnt 0x1
	s_wait_xcnt 0x0
	v_cvt_u32_f32_e32 v3, v6
	s_wait_loadcnt 0x0
	v_cvt_u32_f32_e32 v5, v7
	s_delay_alu instid0(VALU_DEP_1) | instskip(SKIP_1) | instid1(VALU_DEP_2)
	v_min_u32_e32 v6, v3, v5
	v_max_u32_e32 v3, v3, v5
	v_max_u32_e32 v5, v6, v2
	s_delay_alu instid0(VALU_DEP_2) | instskip(NEXT) | instid1(VALU_DEP_2)
	v_cmp_lt_u32_e32 vcc_lo, v3, v2
	v_cndmask_b32_e32 v2, v5, v3, vcc_lo
.LBB3_71:
	s_lshl_b32 s0, s20, 1
	s_xor_b32 s1, s11, 1
	v_cvt_f32_u32_e32 v6, v0
	v_dual_mov_b32 v7, s1 :: v_dual_mov_b32 v5, s9
	v_dual_mov_b32 v8, s0 :: v_dual_mov_b32 v0, s8
	v_cvt_f32_u32_e32 v2, v2
	v_mov_b32_e32 v3, s1
	s_wait_kmcnt 0x0
	s_clause 0x1
	global_store_b128 v8, v[4:7], s[4:5] scale_offset
	global_store_b128 v8, v[0:3], s[4:5] offset:16 scale_offset
.LBB3_72:
	s_endpgm
	.section	.rodata,"a",@progbits
	.p2align	6, 0x0
	.amdhsa_kernel _Z13gqsort_kernelIfEvPT_S1_P12block_recordIS0_EP13parent_recordP11work_recordIS0_E
		.amdhsa_group_segment_fixed_size 1048
		.amdhsa_private_segment_fixed_size 0
		.amdhsa_kernarg_size 40
		.amdhsa_user_sgpr_count 2
		.amdhsa_user_sgpr_dispatch_ptr 0
		.amdhsa_user_sgpr_queue_ptr 0
		.amdhsa_user_sgpr_kernarg_segment_ptr 1
		.amdhsa_user_sgpr_dispatch_id 0
		.amdhsa_user_sgpr_kernarg_preload_length 0
		.amdhsa_user_sgpr_kernarg_preload_offset 0
		.amdhsa_user_sgpr_private_segment_size 0
		.amdhsa_wavefront_size32 1
		.amdhsa_uses_dynamic_stack 0
		.amdhsa_enable_private_segment 0
		.amdhsa_system_sgpr_workgroup_id_x 1
		.amdhsa_system_sgpr_workgroup_id_y 0
		.amdhsa_system_sgpr_workgroup_id_z 0
		.amdhsa_system_sgpr_workgroup_info 0
		.amdhsa_system_vgpr_workitem_id 0
		.amdhsa_next_free_vgpr 22
		.amdhsa_next_free_sgpr 32
		.amdhsa_named_barrier_count 0
		.amdhsa_reserve_vcc 1
		.amdhsa_float_round_mode_32 0
		.amdhsa_float_round_mode_16_64 0
		.amdhsa_float_denorm_mode_32 3
		.amdhsa_float_denorm_mode_16_64 3
		.amdhsa_fp16_overflow 0
		.amdhsa_memory_ordered 1
		.amdhsa_forward_progress 1
		.amdhsa_inst_pref_size 29
		.amdhsa_round_robin_scheduling 0
		.amdhsa_exception_fp_ieee_invalid_op 0
		.amdhsa_exception_fp_denorm_src 0
		.amdhsa_exception_fp_ieee_div_zero 0
		.amdhsa_exception_fp_ieee_overflow 0
		.amdhsa_exception_fp_ieee_underflow 0
		.amdhsa_exception_fp_ieee_inexact 0
		.amdhsa_exception_int_div_zero 0
	.end_amdhsa_kernel
	.section	.text._Z13gqsort_kernelIfEvPT_S1_P12block_recordIS0_EP13parent_recordP11work_recordIS0_E,"axG",@progbits,_Z13gqsort_kernelIfEvPT_S1_P12block_recordIS0_EP13parent_recordP11work_recordIS0_E,comdat
.Lfunc_end3:
	.size	_Z13gqsort_kernelIfEvPT_S1_P12block_recordIS0_EP13parent_recordP11work_recordIS0_E, .Lfunc_end3-_Z13gqsort_kernelIfEvPT_S1_P12block_recordIS0_EP13parent_recordP11work_recordIS0_E
                                        ; -- End function
	.set _Z13gqsort_kernelIfEvPT_S1_P12block_recordIS0_EP13parent_recordP11work_recordIS0_E.num_vgpr, 22
	.set _Z13gqsort_kernelIfEvPT_S1_P12block_recordIS0_EP13parent_recordP11work_recordIS0_E.num_agpr, 0
	.set _Z13gqsort_kernelIfEvPT_S1_P12block_recordIS0_EP13parent_recordP11work_recordIS0_E.numbered_sgpr, 32
	.set _Z13gqsort_kernelIfEvPT_S1_P12block_recordIS0_EP13parent_recordP11work_recordIS0_E.num_named_barrier, 0
	.set _Z13gqsort_kernelIfEvPT_S1_P12block_recordIS0_EP13parent_recordP11work_recordIS0_E.private_seg_size, 0
	.set _Z13gqsort_kernelIfEvPT_S1_P12block_recordIS0_EP13parent_recordP11work_recordIS0_E.uses_vcc, 1
	.set _Z13gqsort_kernelIfEvPT_S1_P12block_recordIS0_EP13parent_recordP11work_recordIS0_E.uses_flat_scratch, 0
	.set _Z13gqsort_kernelIfEvPT_S1_P12block_recordIS0_EP13parent_recordP11work_recordIS0_E.has_dyn_sized_stack, 0
	.set _Z13gqsort_kernelIfEvPT_S1_P12block_recordIS0_EP13parent_recordP11work_recordIS0_E.has_recursion, 0
	.set _Z13gqsort_kernelIfEvPT_S1_P12block_recordIS0_EP13parent_recordP11work_recordIS0_E.has_indirect_call, 0
	.section	.AMDGPU.csdata,"",@progbits
; Kernel info:
; codeLenInByte = 3600
; TotalNumSgprs: 34
; NumVgprs: 22
; ScratchSize: 0
; MemoryBound: 0
; FloatMode: 240
; IeeeMode: 1
; LDSByteSize: 1048 bytes/workgroup (compile time only)
; SGPRBlocks: 0
; VGPRBlocks: 1
; NumSGPRsForWavesPerEU: 34
; NumVGPRsForWavesPerEU: 22
; NamedBarCnt: 0
; Occupancy: 16
; WaveLimiterHint : 1
; COMPUTE_PGM_RSRC2:SCRATCH_EN: 0
; COMPUTE_PGM_RSRC2:USER_SGPR: 2
; COMPUTE_PGM_RSRC2:TRAP_HANDLER: 0
; COMPUTE_PGM_RSRC2:TGID_X_EN: 1
; COMPUTE_PGM_RSRC2:TGID_Y_EN: 0
; COMPUTE_PGM_RSRC2:TGID_Z_EN: 0
; COMPUTE_PGM_RSRC2:TIDIG_COMP_CNT: 0
	.text
	.p2align	2                               ; -- Begin function _Z14sort_thresholdIfEvPT_S1_jjS1_j
	.type	_Z14sort_thresholdIfEvPT_S1_jjS1_j,@function
_Z14sort_thresholdIfEvPT_S1_jjS1_j:     ; @_Z14sort_thresholdIfEvPT_S1_jjS1_j
; %bb.0:
	s_wait_loadcnt_dscnt 0x0
	s_wait_kmcnt 0x0
	v_sub_nc_u32_e32 v5, v5, v4
	s_mov_b32 s0, exec_lo
	s_delay_alu instid0(VALU_DEP_1)
	v_cmpx_ne_u32_e32 0x100, v5
	s_xor_b32 s1, exec_lo, s0
	s_cbranch_execnz .LBB4_3
; %bb.1:
	s_and_not1_saveexec_b32 s0, s1
	s_cbranch_execnz .LBB4_18
.LBB4_2:
	s_or_b32 exec_lo, exec_lo, s0
	s_wait_dscnt 0x0
	s_set_pc_i64 s[30:31]
.LBB4_3:
	s_mov_b32 s0, exec_lo
	v_cmpx_gt_u32_e32 2, v5
	s_xor_b32 s2, exec_lo, s0
	s_cbranch_execz .LBB4_7
; %bb.4:
	v_cmp_eq_u32_e32 vcc_lo, 1, v5
	v_cmp_eq_u32_e64 s0, 0, v6
	s_and_b32 s3, vcc_lo, s0
	s_delay_alu instid0(SALU_CYCLE_1)
	s_and_saveexec_b32 s0, s3
	s_cbranch_execz .LBB4_6
; %bb.5:
	v_mov_b32_e32 v5, 0
	s_delay_alu instid0(VALU_DEP_1) | instskip(NEXT) | instid1(VALU_DEP_1)
	v_lshlrev_b64_e32 v[4:5], 2, v[4:5]
	v_add_nc_u64_e32 v[0:1], v[0:1], v[4:5]
	flat_load_b32 v6, v[0:1]
	s_wait_xcnt 0x0
	v_add_nc_u64_e32 v[0:1], v[2:3], v[4:5]
	s_wait_loadcnt_dscnt 0x0
	flat_store_b32 v[0:1], v6
.LBB4_6:
	s_wait_xcnt 0x0
	s_or_b32 exec_lo, exec_lo, s0
                                        ; implicit-def: $vgpr6
                                        ; implicit-def: $vgpr5
                                        ; implicit-def: $vgpr4
                                        ; implicit-def: $vgpr2_vgpr3
                                        ; implicit-def: $vgpr0_vgpr1
.LBB4_7:
	s_and_not1_saveexec_b32 s0, s2
	s_cbranch_execz .LBB4_17
; %bb.8:
	v_lshl_add_u32 v7, v6, 2, 0x3600
	s_mov_b32 s2, exec_lo
	v_cmpx_gt_u32_e32 0x100, v6
	s_cbranch_execz .LBB4_13
; %bb.9:
	v_lshl_add_u32 v10, v6, 2, 0x3600
	v_dual_mov_b32 v9, 0 :: v_dual_mov_b32 v11, v6
	s_mov_b32 s3, 0
	s_branch .LBB4_11
.LBB4_10:                               ;   in Loop: Header=BB4_11 Depth=1
	s_wait_xcnt 0x0
	s_or_b32 exec_lo, exec_lo, s4
	v_add_nc_u32_e32 v12, 0x80, v11
	v_cmp_lt_u32_e32 vcc_lo, 0x7f, v11
	s_wait_loadcnt_dscnt 0x0
	ds_store_b32 v10, v8
	v_dual_mov_b32 v11, v12 :: v_dual_add_nc_u32 v10, 0x200, v10
	s_or_b32 s3, vcc_lo, s3
	s_delay_alu instid0(SALU_CYCLE_1)
	s_and_not1_b32 exec_lo, exec_lo, s3
	s_cbranch_execz .LBB4_13
.LBB4_11:                               ; =>This Inner Loop Header: Depth=1
	v_mov_b32_e32 v8, 0x4f800000
	s_mov_b32 s4, exec_lo
	v_cmpx_lt_u32_e64 v11, v5
	s_cbranch_execz .LBB4_10
; %bb.12:                               ;   in Loop: Header=BB4_11 Depth=1
	v_add_nc_u32_e32 v8, v4, v11
	s_delay_alu instid0(VALU_DEP_1)
	v_lshl_add_u64 v[12:13], v[8:9], 2, v[0:1]
	flat_load_b32 v8, v[12:13]
	s_branch .LBB4_10
.LBB4_13:
	s_or_b32 exec_lo, exec_lo, s2
	v_dual_lshlrev_b32 v0, 3, v6 :: v_dual_bitop2_b32 v10, 1, v6 bitop3:0x40
	s_wait_storecnt_dscnt 0x0
	s_barrier_signal -1
	s_barrier_wait -1
	ds_load_b64 v[8:9], v0 offset:13824
	v_cmp_eq_u32_e32 vcc_lo, 0, v10
	s_mov_b32 s2, 0
	s_mov_b32 s3, exec_lo
	s_wait_dscnt 0x0
	v_cvt_u32_f32_e32 v1, v8
	v_cvt_u32_f32_e32 v8, v9
	s_delay_alu instid0(VALU_DEP_1) | instskip(SKIP_2) | instid1(VALU_DEP_1)
	v_max_u32_e32 v11, v1, v8
	v_min_u32_e32 v1, v1, v8
	v_lshlrev_b32_e32 v9, 1, v6
	v_dual_sub_nc_u32 v8, v9, v10 :: v_dual_cndmask_b32 v10, v11, v1, vcc_lo
	s_delay_alu instid0(VALU_DEP_1) | instskip(NEXT) | instid1(VALU_DEP_2)
	v_dual_cndmask_b32 v1, v1, v11 :: v_dual_lshlrev_b32 v8, 2, v8
	v_cvt_f32_u32_e32 v10, v10
	s_delay_alu instid0(VALU_DEP_2) | instskip(NEXT) | instid1(VALU_DEP_3)
	v_cvt_f32_u32_e32 v11, v1
	v_add_nc_u32_e32 v1, 0x3400, v8
	ds_store_b64 v0, v[10:11] offset:13824
	s_wait_dscnt 0x0
	s_barrier_signal -1
	s_barrier_wait -1
	ds_load_2addr_b32 v[10:11], v1 offset0:128 offset1:130
	s_wait_dscnt 0x0
	v_cvt_u32_f32_e32 v8, v10
	v_cvt_u32_f32_e32 v10, v11
	s_delay_alu instid0(VALU_DEP_1) | instskip(SKIP_2) | instid1(VALU_DEP_1)
	v_max_u32_e32 v12, v8, v10
	v_min_u32_e32 v8, v8, v10
	v_and_b32_e32 v11, 2, v6
	v_cmp_eq_u32_e32 vcc_lo, 0, v11
	s_delay_alu instid0(VALU_DEP_3) | instskip(SKIP_1) | instid1(VALU_DEP_2)
	v_cndmask_b32_e32 v10, v12, v8, vcc_lo
	v_cndmask_b32_e32 v8, v8, v12, vcc_lo
	v_cvt_f32_u32_e32 v10, v10
	s_delay_alu instid0(VALU_DEP_2)
	v_cvt_f32_u32_e32 v8, v8
	ds_store_2addr_b32 v1, v10, v8 offset0:128 offset1:130
	s_wait_dscnt 0x0
	s_barrier_signal -1
	s_barrier_wait -1
	ds_load_b64 v[10:11], v0 offset:13824
	s_wait_dscnt 0x0
	v_cvt_u32_f32_e32 v8, v10
	v_cvt_u32_f32_e32 v10, v11
	s_delay_alu instid0(VALU_DEP_1) | instskip(SKIP_2) | instid1(VALU_DEP_1)
	v_max_u32_e32 v12, v8, v10
	v_min_u32_e32 v8, v8, v10
	v_and_b32_e32 v11, 3, v6
	v_dual_cndmask_b32 v11, v12, v8 :: v_dual_sub_nc_u32 v10, v9, v11
	s_delay_alu instid0(VALU_DEP_1) | instskip(NEXT) | instid1(VALU_DEP_2)
	v_dual_cndmask_b32 v8, v8, v12, vcc_lo :: v_dual_lshlrev_b32 v12, 2, v10
	v_cvt_f32_u32_e32 v10, v11
	s_delay_alu instid0(VALU_DEP_2) | instskip(NEXT) | instid1(VALU_DEP_3)
	v_cvt_f32_u32_e32 v11, v8
	v_add_nc_u32_e32 v8, 0x3400, v12
	ds_store_b64 v0, v[10:11] offset:13824
	s_wait_dscnt 0x0
	s_barrier_signal -1
	s_barrier_wait -1
	ds_load_2addr_b32 v[10:11], v8 offset0:128 offset1:132
	s_wait_dscnt 0x0
	v_cvt_u32_f32_e32 v10, v10
	v_cvt_u32_f32_e32 v11, v11
	s_delay_alu instid0(VALU_DEP_1) | instskip(SKIP_2) | instid1(VALU_DEP_1)
	v_max_u32_e32 v13, v10, v11
	v_min_u32_e32 v10, v10, v11
	v_and_b32_e32 v12, 4, v6
	v_cmp_eq_u32_e32 vcc_lo, 0, v12
	s_delay_alu instid0(VALU_DEP_3) | instskip(NEXT) | instid1(VALU_DEP_1)
	v_dual_cndmask_b32 v11, v13, v10 :: v_dual_cndmask_b32 v10, v10, v13
	v_cvt_f32_u32_e32 v11, v11
	s_delay_alu instid0(VALU_DEP_2)
	v_cvt_f32_u32_e32 v10, v10
	ds_store_2addr_b32 v8, v11, v10 offset0:128 offset1:132
	s_wait_dscnt 0x0
	s_barrier_signal -1
	s_barrier_wait -1
	ds_load_2addr_b32 v[10:11], v1 offset0:128 offset1:130
	s_wait_dscnt 0x0
	v_cvt_u32_f32_e32 v10, v10
	v_cvt_u32_f32_e32 v11, v11
	s_delay_alu instid0(VALU_DEP_1) | instskip(SKIP_1) | instid1(VALU_DEP_1)
	v_max_u32_e32 v12, v10, v11
	v_min_u32_e32 v10, v10, v11
	v_dual_cndmask_b32 v11, v12, v10 :: v_dual_cndmask_b32 v10, v10, v12
	s_delay_alu instid0(VALU_DEP_1) | instskip(NEXT) | instid1(VALU_DEP_2)
	v_cvt_f32_u32_e32 v11, v11
	v_cvt_f32_u32_e32 v10, v10
	ds_store_2addr_b32 v1, v11, v10 offset0:128 offset1:130
	s_wait_dscnt 0x0
	s_barrier_signal -1
	s_barrier_wait -1
	ds_load_b64 v[10:11], v0 offset:13824
	s_wait_dscnt 0x0
	v_cvt_u32_f32_e32 v10, v10
	v_cvt_u32_f32_e32 v11, v11
	s_delay_alu instid0(VALU_DEP_1) | instskip(SKIP_2) | instid1(VALU_DEP_1)
	v_max_u32_e32 v13, v10, v11
	v_min_u32_e32 v10, v10, v11
	v_and_b32_e32 v12, 7, v6
	v_sub_nc_u32_e32 v11, v9, v12
	s_delay_alu instid0(VALU_DEP_3) | instskip(NEXT) | instid1(VALU_DEP_2)
	v_dual_cndmask_b32 v12, v13, v10, vcc_lo :: v_dual_cndmask_b32 v10, v10, v13, vcc_lo
	v_lshlrev_b32_e32 v11, 2, v11
	s_delay_alu instid0(VALU_DEP_2) | instskip(NEXT) | instid1(VALU_DEP_3)
	v_cvt_f32_u32_e32 v12, v12
	v_cvt_f32_u32_e32 v13, v10
	s_delay_alu instid0(VALU_DEP_3)
	v_add_nc_u32_e32 v10, 0x3400, v11
	ds_store_b64 v0, v[12:13] offset:13824
	s_wait_dscnt 0x0
	s_barrier_signal -1
	s_barrier_wait -1
	ds_load_2addr_b32 v[12:13], v10 offset0:128 offset1:136
	s_wait_dscnt 0x0
	v_cvt_u32_f32_e32 v11, v12
	v_cvt_u32_f32_e32 v12, v13
	v_and_b32_e32 v13, 8, v6
	s_delay_alu instid0(VALU_DEP_2) | instskip(SKIP_1) | instid1(VALU_DEP_3)
	v_max_u32_e32 v14, v11, v12
	v_min_u32_e32 v11, v11, v12
	v_cmp_eq_u32_e32 vcc_lo, 0, v13
	s_delay_alu instid0(VALU_DEP_2) | instskip(NEXT) | instid1(VALU_DEP_1)
	v_dual_cndmask_b32 v12, v14, v11 :: v_dual_cndmask_b32 v11, v11, v14
	v_cvt_f32_u32_e32 v12, v12
	s_delay_alu instid0(VALU_DEP_2)
	v_cvt_f32_u32_e32 v11, v11
	ds_store_2addr_b32 v10, v12, v11 offset0:128 offset1:136
	s_wait_dscnt 0x0
	s_barrier_signal -1
	s_barrier_wait -1
	ds_load_2addr_b32 v[12:13], v8 offset0:128 offset1:132
	s_wait_dscnt 0x0
	v_cvt_u32_f32_e32 v11, v12
	v_cvt_u32_f32_e32 v12, v13
	s_delay_alu instid0(VALU_DEP_1) | instskip(SKIP_1) | instid1(VALU_DEP_1)
	v_max_u32_e32 v13, v11, v12
	v_min_u32_e32 v11, v11, v12
	v_dual_cndmask_b32 v12, v13, v11 :: v_dual_cndmask_b32 v11, v11, v13
	s_delay_alu instid0(VALU_DEP_1) | instskip(NEXT) | instid1(VALU_DEP_2)
	v_cvt_f32_u32_e32 v12, v12
	v_cvt_f32_u32_e32 v11, v11
	ds_store_2addr_b32 v8, v12, v11 offset0:128 offset1:132
	s_wait_dscnt 0x0
	s_barrier_signal -1
	s_barrier_wait -1
	ds_load_2addr_b32 v[12:13], v1 offset0:128 offset1:130
	s_wait_dscnt 0x0
	v_cvt_u32_f32_e32 v11, v12
	v_cvt_u32_f32_e32 v12, v13
	s_delay_alu instid0(VALU_DEP_1) | instskip(SKIP_1) | instid1(VALU_DEP_1)
	v_max_u32_e32 v13, v11, v12
	v_min_u32_e32 v11, v11, v12
	v_dual_cndmask_b32 v12, v13, v11 :: v_dual_cndmask_b32 v11, v11, v13
	s_delay_alu instid0(VALU_DEP_1) | instskip(NEXT) | instid1(VALU_DEP_2)
	v_cvt_f32_u32_e32 v12, v12
	v_cvt_f32_u32_e32 v11, v11
	ds_store_2addr_b32 v1, v12, v11 offset0:128 offset1:130
	s_wait_dscnt 0x0
	s_barrier_signal -1
	s_barrier_wait -1
	ds_load_b64 v[12:13], v0 offset:13824
	s_wait_dscnt 0x0
	v_cvt_u32_f32_e32 v11, v12
	v_cvt_u32_f32_e32 v12, v13
	v_and_b32_e32 v13, 15, v6
	s_delay_alu instid0(VALU_DEP_2) | instskip(SKIP_1) | instid1(VALU_DEP_1)
	v_max_u32_e32 v14, v11, v12
	v_min_u32_e32 v11, v11, v12
	v_dual_cndmask_b32 v13, v14, v11 :: v_dual_sub_nc_u32 v12, v9, v13
	s_delay_alu instid0(VALU_DEP_1) | instskip(NEXT) | instid1(VALU_DEP_2)
	v_dual_cndmask_b32 v11, v11, v14 :: v_dual_lshlrev_b32 v14, 2, v12
	v_cvt_f32_u32_e32 v12, v13
	s_delay_alu instid0(VALU_DEP_2) | instskip(NEXT) | instid1(VALU_DEP_3)
	v_cvt_f32_u32_e32 v13, v11
	v_add_nc_u32_e32 v11, 0x3400, v14
	ds_store_b64 v0, v[12:13] offset:13824
	s_wait_dscnt 0x0
	s_barrier_signal -1
	s_barrier_wait -1
	ds_load_2addr_b32 v[12:13], v11 offset0:128 offset1:144
	s_wait_dscnt 0x0
	v_cvt_u32_f32_e32 v12, v12
	v_cvt_u32_f32_e32 v13, v13
	s_delay_alu instid0(VALU_DEP_1) | instskip(SKIP_2) | instid1(VALU_DEP_1)
	v_max_u32_e32 v15, v12, v13
	v_min_u32_e32 v12, v12, v13
	v_and_b32_e32 v14, 16, v6
	v_cmp_eq_u32_e32 vcc_lo, 0, v14
	s_delay_alu instid0(VALU_DEP_3) | instskip(NEXT) | instid1(VALU_DEP_1)
	v_dual_cndmask_b32 v13, v15, v12 :: v_dual_cndmask_b32 v12, v12, v15
	v_cvt_f32_u32_e32 v13, v13
	s_delay_alu instid0(VALU_DEP_2)
	v_cvt_f32_u32_e32 v12, v12
	ds_store_2addr_b32 v11, v13, v12 offset0:128 offset1:144
	s_wait_dscnt 0x0
	s_barrier_signal -1
	s_barrier_wait -1
	ds_load_2addr_b32 v[12:13], v10 offset0:128 offset1:136
	s_wait_dscnt 0x0
	v_cvt_u32_f32_e32 v12, v12
	v_cvt_u32_f32_e32 v13, v13
	s_delay_alu instid0(VALU_DEP_1) | instskip(SKIP_1) | instid1(VALU_DEP_1)
	v_max_u32_e32 v14, v12, v13
	v_min_u32_e32 v12, v12, v13
	v_dual_cndmask_b32 v13, v14, v12 :: v_dual_cndmask_b32 v12, v12, v14
	s_delay_alu instid0(VALU_DEP_1) | instskip(NEXT) | instid1(VALU_DEP_2)
	v_cvt_f32_u32_e32 v13, v13
	v_cvt_f32_u32_e32 v12, v12
	ds_store_2addr_b32 v10, v13, v12 offset0:128 offset1:136
	s_wait_dscnt 0x0
	s_barrier_signal -1
	s_barrier_wait -1
	ds_load_2addr_b32 v[12:13], v8 offset0:128 offset1:132
	s_wait_dscnt 0x0
	v_cvt_u32_f32_e32 v12, v12
	v_cvt_u32_f32_e32 v13, v13
	s_delay_alu instid0(VALU_DEP_1) | instskip(SKIP_1) | instid1(VALU_DEP_1)
	v_max_u32_e32 v14, v12, v13
	v_min_u32_e32 v12, v12, v13
	v_dual_cndmask_b32 v13, v14, v12 :: v_dual_cndmask_b32 v12, v12, v14
	s_delay_alu instid0(VALU_DEP_1) | instskip(NEXT) | instid1(VALU_DEP_2)
	v_cvt_f32_u32_e32 v13, v13
	;; [unrolled: 15-line block ×3, first 2 shown]
	v_cvt_f32_u32_e32 v12, v12
	ds_store_2addr_b32 v1, v13, v12 offset0:128 offset1:130
	s_wait_dscnt 0x0
	s_barrier_signal -1
	s_barrier_wait -1
	ds_load_b64 v[12:13], v0 offset:13824
	s_wait_dscnt 0x0
	v_cvt_u32_f32_e32 v12, v12
	v_cvt_u32_f32_e32 v13, v13
	s_delay_alu instid0(VALU_DEP_1) | instskip(SKIP_2) | instid1(VALU_DEP_1)
	v_max_u32_e32 v15, v12, v13
	v_min_u32_e32 v12, v12, v13
	v_and_b32_e32 v14, 31, v6
	v_dual_cndmask_b32 v14, v15, v12 :: v_dual_sub_nc_u32 v13, v9, v14
	s_delay_alu instid0(VALU_DEP_1) | instskip(NEXT) | instid1(VALU_DEP_2)
	v_dual_cndmask_b32 v12, v12, v15 :: v_dual_lshlrev_b32 v13, 2, v13
	v_cvt_f32_u32_e32 v14, v14
	s_delay_alu instid0(VALU_DEP_2) | instskip(NEXT) | instid1(VALU_DEP_3)
	v_cvt_f32_u32_e32 v15, v12
	v_add_nc_u32_e32 v12, 0x3400, v13
	ds_store_b64 v0, v[14:15] offset:13824
	s_wait_dscnt 0x0
	s_barrier_signal -1
	s_barrier_wait -1
	ds_load_2addr_b32 v[14:15], v12 offset0:128 offset1:160
	s_wait_dscnt 0x0
	v_cvt_u32_f32_e32 v13, v14
	v_cvt_u32_f32_e32 v14, v15
	v_and_b32_e32 v15, 32, v6
	s_delay_alu instid0(VALU_DEP_2) | instskip(SKIP_1) | instid1(VALU_DEP_3)
	v_max_u32_e32 v16, v13, v14
	v_min_u32_e32 v13, v13, v14
	v_cmp_eq_u32_e32 vcc_lo, 0, v15
	s_delay_alu instid0(VALU_DEP_2) | instskip(NEXT) | instid1(VALU_DEP_1)
	v_dual_cndmask_b32 v14, v16, v13 :: v_dual_cndmask_b32 v13, v13, v16
	v_cvt_f32_u32_e32 v14, v14
	s_delay_alu instid0(VALU_DEP_2)
	v_cvt_f32_u32_e32 v13, v13
	ds_store_2addr_b32 v12, v14, v13 offset0:128 offset1:160
	s_wait_dscnt 0x0
	s_barrier_signal -1
	s_barrier_wait -1
	ds_load_2addr_b32 v[14:15], v11 offset0:128 offset1:144
	s_wait_dscnt 0x0
	v_cvt_u32_f32_e32 v13, v14
	v_cvt_u32_f32_e32 v14, v15
	s_delay_alu instid0(VALU_DEP_1) | instskip(SKIP_1) | instid1(VALU_DEP_1)
	v_max_u32_e32 v15, v13, v14
	v_min_u32_e32 v13, v13, v14
	v_dual_cndmask_b32 v14, v15, v13 :: v_dual_cndmask_b32 v13, v13, v15
	s_delay_alu instid0(VALU_DEP_1) | instskip(NEXT) | instid1(VALU_DEP_2)
	v_cvt_f32_u32_e32 v14, v14
	v_cvt_f32_u32_e32 v13, v13
	ds_store_2addr_b32 v11, v14, v13 offset0:128 offset1:144
	s_wait_dscnt 0x0
	s_barrier_signal -1
	s_barrier_wait -1
	ds_load_2addr_b32 v[14:15], v10 offset0:128 offset1:136
	s_wait_dscnt 0x0
	v_cvt_u32_f32_e32 v13, v14
	v_cvt_u32_f32_e32 v14, v15
	s_delay_alu instid0(VALU_DEP_1) | instskip(SKIP_1) | instid1(VALU_DEP_1)
	v_max_u32_e32 v15, v13, v14
	v_min_u32_e32 v13, v13, v14
	v_dual_cndmask_b32 v14, v15, v13 :: v_dual_cndmask_b32 v13, v13, v15
	s_delay_alu instid0(VALU_DEP_1) | instskip(NEXT) | instid1(VALU_DEP_2)
	v_cvt_f32_u32_e32 v14, v14
	;; [unrolled: 15-line block ×4, first 2 shown]
	v_cvt_f32_u32_e32 v13, v13
	ds_store_2addr_b32 v1, v14, v13 offset0:128 offset1:130
	s_wait_dscnt 0x0
	s_barrier_signal -1
	s_barrier_wait -1
	ds_load_b64 v[14:15], v0 offset:13824
	s_wait_dscnt 0x0
	v_cvt_u32_f32_e32 v13, v14
	v_cvt_u32_f32_e32 v14, v15
	s_delay_alu instid0(VALU_DEP_1) | instskip(SKIP_1) | instid1(VALU_DEP_1)
	v_max_u32_e32 v15, v13, v14
	v_min_u32_e32 v13, v13, v14
	v_dual_cndmask_b32 v16, v15, v13, vcc_lo :: v_dual_bitop2_b32 v14, 63, v6 bitop3:0x40
	v_cndmask_b32_e32 v13, v13, v15, vcc_lo
	s_delay_alu instid0(VALU_DEP_2) | instskip(NEXT) | instid1(VALU_DEP_3)
	v_sub_nc_u32_e32 v17, v9, v14
	v_cvt_f32_u32_e32 v14, v16
	s_delay_alu instid0(VALU_DEP_3) | instskip(NEXT) | instid1(VALU_DEP_3)
	v_cvt_f32_u32_e32 v15, v13
	v_dual_lshlrev_b32 v13, 2, v17 :: v_dual_bitop2_b32 v16, 64, v6 bitop3:0x40
	ds_store_b64 v0, v[14:15] offset:13824
	s_wait_dscnt 0x0
	s_barrier_signal -1
	s_barrier_wait -1
	ds_load_2addr_stride64_b32 v[14:15], v13 offset0:54 offset1:55
	v_cmp_eq_u32_e32 vcc_lo, 0, v16
	s_wait_dscnt 0x0
	v_cvt_u32_f32_e32 v14, v14
	v_cvt_u32_f32_e32 v15, v15
	s_delay_alu instid0(VALU_DEP_1) | instskip(SKIP_1) | instid1(VALU_DEP_1)
	v_max_u32_e32 v17, v14, v15
	v_min_u32_e32 v14, v14, v15
	v_dual_cndmask_b32 v15, v17, v14 :: v_dual_cndmask_b32 v14, v14, v17
	s_delay_alu instid0(VALU_DEP_1) | instskip(NEXT) | instid1(VALU_DEP_2)
	v_cvt_f32_u32_e32 v15, v15
	v_cvt_f32_u32_e32 v14, v14
	ds_store_2addr_stride64_b32 v13, v15, v14 offset0:54 offset1:55
	s_wait_dscnt 0x0
	s_barrier_signal -1
	s_barrier_wait -1
	ds_load_2addr_b32 v[14:15], v12 offset0:128 offset1:160
	s_wait_dscnt 0x0
	v_cvt_u32_f32_e32 v14, v14
	v_cvt_u32_f32_e32 v15, v15
	s_delay_alu instid0(VALU_DEP_1) | instskip(SKIP_1) | instid1(VALU_DEP_1)
	v_max_u32_e32 v16, v14, v15
	v_min_u32_e32 v14, v14, v15
	v_dual_cndmask_b32 v15, v16, v14 :: v_dual_cndmask_b32 v14, v14, v16
	s_delay_alu instid0(VALU_DEP_1) | instskip(NEXT) | instid1(VALU_DEP_2)
	v_cvt_f32_u32_e32 v15, v15
	v_cvt_f32_u32_e32 v14, v14
	ds_store_2addr_b32 v12, v15, v14 offset0:128 offset1:160
	s_wait_dscnt 0x0
	s_barrier_signal -1
	s_barrier_wait -1
	ds_load_2addr_b32 v[14:15], v11 offset0:128 offset1:144
	s_wait_dscnt 0x0
	v_cvt_u32_f32_e32 v14, v14
	v_cvt_u32_f32_e32 v15, v15
	s_delay_alu instid0(VALU_DEP_1) | instskip(SKIP_1) | instid1(VALU_DEP_1)
	v_max_u32_e32 v16, v14, v15
	v_min_u32_e32 v14, v14, v15
	v_dual_cndmask_b32 v15, v16, v14 :: v_dual_cndmask_b32 v14, v14, v16
	s_delay_alu instid0(VALU_DEP_1) | instskip(NEXT) | instid1(VALU_DEP_2)
	v_cvt_f32_u32_e32 v15, v15
	v_cvt_f32_u32_e32 v14, v14
	ds_store_2addr_b32 v11, v15, v14 offset0:128 offset1:144
	s_wait_dscnt 0x0
	s_barrier_signal -1
	s_barrier_wait -1
	ds_load_2addr_b32 v[14:15], v10 offset0:128 offset1:136
	s_wait_dscnt 0x0
	v_cvt_u32_f32_e32 v14, v14
	v_cvt_u32_f32_e32 v15, v15
	s_delay_alu instid0(VALU_DEP_1) | instskip(SKIP_1) | instid1(VALU_DEP_1)
	v_max_u32_e32 v16, v14, v15
	v_min_u32_e32 v14, v14, v15
	v_dual_cndmask_b32 v15, v16, v14 :: v_dual_cndmask_b32 v14, v14, v16
	s_delay_alu instid0(VALU_DEP_1) | instskip(NEXT) | instid1(VALU_DEP_2)
	v_cvt_f32_u32_e32 v15, v15
	v_cvt_f32_u32_e32 v14, v14
	ds_store_2addr_b32 v10, v15, v14 offset0:128 offset1:136
	s_wait_dscnt 0x0
	s_barrier_signal -1
	s_barrier_wait -1
	ds_load_2addr_b32 v[14:15], v8 offset0:128 offset1:132
	s_wait_dscnt 0x0
	v_cvt_u32_f32_e32 v14, v14
	v_cvt_u32_f32_e32 v15, v15
	s_delay_alu instid0(VALU_DEP_1) | instskip(SKIP_1) | instid1(VALU_DEP_1)
	v_max_u32_e32 v16, v14, v15
	v_min_u32_e32 v14, v14, v15
	v_dual_cndmask_b32 v15, v16, v14 :: v_dual_cndmask_b32 v14, v14, v16
	s_delay_alu instid0(VALU_DEP_1) | instskip(NEXT) | instid1(VALU_DEP_2)
	v_cvt_f32_u32_e32 v15, v15
	v_cvt_f32_u32_e32 v14, v14
	ds_store_2addr_b32 v8, v15, v14 offset0:128 offset1:132
	s_wait_dscnt 0x0
	s_barrier_signal -1
	s_barrier_wait -1
	ds_load_2addr_b32 v[14:15], v1 offset0:128 offset1:130
	s_wait_dscnt 0x0
	v_cvt_u32_f32_e32 v14, v14
	v_cvt_u32_f32_e32 v15, v15
	s_delay_alu instid0(VALU_DEP_1) | instskip(SKIP_1) | instid1(VALU_DEP_1)
	v_max_u32_e32 v16, v14, v15
	v_min_u32_e32 v14, v14, v15
	v_dual_cndmask_b32 v15, v16, v14 :: v_dual_cndmask_b32 v14, v14, v16
	s_delay_alu instid0(VALU_DEP_1) | instskip(NEXT) | instid1(VALU_DEP_2)
	v_cvt_f32_u32_e32 v15, v15
	v_cvt_f32_u32_e32 v14, v14
	ds_store_2addr_b32 v1, v15, v14 offset0:128 offset1:130
	s_wait_dscnt 0x0
	s_barrier_signal -1
	s_barrier_wait -1
	ds_load_b64 v[14:15], v0 offset:13824
	s_wait_dscnt 0x0
	v_cvt_u32_f32_e32 v14, v14
	v_cvt_u32_f32_e32 v15, v15
	s_delay_alu instid0(VALU_DEP_1) | instskip(SKIP_2) | instid1(VALU_DEP_2)
	v_max_u32_e32 v16, v14, v15
	v_min_u32_e32 v14, v14, v15
	v_and_b32_e32 v15, 0x7f, v6
	v_dual_cndmask_b32 v17, v16, v14 :: v_dual_cndmask_b32 v16, v14, v16
	s_delay_alu instid0(VALU_DEP_2) | instskip(NEXT) | instid1(VALU_DEP_2)
	v_sub_nc_u32_e32 v9, v9, v15
	v_cvt_f32_u32_e32 v14, v17
	s_delay_alu instid0(VALU_DEP_3) | instskip(NEXT) | instid1(VALU_DEP_3)
	v_cvt_f32_u32_e32 v15, v16
	v_lshlrev_b32_e32 v9, 2, v9
	ds_store_b64 v0, v[14:15] offset:13824
	s_wait_dscnt 0x0
	s_barrier_signal -1
	s_barrier_wait -1
	ds_load_2addr_stride64_b32 v[14:15], v9 offset0:54 offset1:56
	s_wait_dscnt 0x0
	v_cvt_u32_f32_e32 v14, v14
	v_cvt_u32_f32_e32 v15, v15
	s_delay_alu instid0(VALU_DEP_1) | instskip(SKIP_1) | instid1(VALU_DEP_2)
	v_min_u32_e32 v16, v14, v15
	v_max_u32_e32 v14, v14, v15
	v_cvt_f32_u32_e32 v15, v16
	s_delay_alu instid0(VALU_DEP_2)
	v_cvt_f32_u32_e32 v14, v14
	ds_store_2addr_stride64_b32 v9, v15, v14 offset0:54 offset1:56
	s_wait_dscnt 0x0
	s_barrier_signal -1
	s_barrier_wait -1
	ds_load_2addr_stride64_b32 v[14:15], v13 offset0:54 offset1:55
	s_wait_dscnt 0x0
	v_cvt_u32_f32_e32 v9, v14
	v_cvt_u32_f32_e32 v14, v15
	s_delay_alu instid0(VALU_DEP_1) | instskip(SKIP_1) | instid1(VALU_DEP_2)
	v_min_u32_e32 v15, v9, v14
	v_max_u32_e32 v9, v9, v14
	v_cvt_f32_u32_e32 v14, v15
	s_delay_alu instid0(VALU_DEP_2)
	v_cvt_f32_u32_e32 v9, v9
	ds_store_2addr_stride64_b32 v13, v14, v9 offset0:54 offset1:55
	s_wait_dscnt 0x0
	s_barrier_signal -1
	s_barrier_wait -1
	ds_load_2addr_b32 v[14:15], v12 offset0:128 offset1:160
	s_wait_dscnt 0x0
	v_cvt_u32_f32_e32 v9, v14
	v_cvt_u32_f32_e32 v13, v15
	s_delay_alu instid0(VALU_DEP_1) | instskip(SKIP_1) | instid1(VALU_DEP_2)
	v_min_u32_e32 v14, v9, v13
	v_max_u32_e32 v9, v9, v13
	v_cvt_f32_u32_e32 v13, v14
	s_delay_alu instid0(VALU_DEP_2)
	v_cvt_f32_u32_e32 v9, v9
	ds_store_2addr_b32 v12, v13, v9 offset0:128 offset1:160
	s_wait_dscnt 0x0
	s_barrier_signal -1
	s_barrier_wait -1
	ds_load_2addr_b32 v[12:13], v11 offset0:128 offset1:144
	s_wait_dscnt 0x0
	v_cvt_u32_f32_e32 v9, v12
	v_cvt_u32_f32_e32 v12, v13
	s_delay_alu instid0(VALU_DEP_1) | instskip(SKIP_1) | instid1(VALU_DEP_2)
	v_min_u32_e32 v13, v9, v12
	v_max_u32_e32 v9, v9, v12
	v_cvt_f32_u32_e32 v12, v13
	s_delay_alu instid0(VALU_DEP_2)
	v_cvt_f32_u32_e32 v9, v9
	ds_store_2addr_b32 v11, v12, v9 offset0:128 offset1:144
	;; [unrolled: 14-line block ×5, first 2 shown]
	s_wait_dscnt 0x0
	s_barrier_signal -1
	s_barrier_wait -1
	ds_load_b64 v[8:9], v0 offset:13824
	s_wait_dscnt 0x0
	v_cvt_u32_f32_e32 v1, v8
	v_cvt_u32_f32_e32 v8, v9
	s_delay_alu instid0(VALU_DEP_1) | instskip(SKIP_1) | instid1(VALU_DEP_2)
	v_max_u32_e32 v9, v1, v8
	v_min_u32_e32 v1, v1, v8
	v_cvt_f32_u32_e32 v9, v9
	s_delay_alu instid0(VALU_DEP_2)
	v_cvt_f32_u32_e32 v8, v1
	ds_store_b64 v0, v[8:9] offset:13824
	s_wait_dscnt 0x0
	s_barrier_signal -1
	s_barrier_wait -1
	v_cmpx_lt_u32_e64 v6, v5
	s_cbranch_execz .LBB4_16
; %bb.14:
	v_mov_b32_e32 v1, 0
.LBB4_15:                               ; =>This Inner Loop Header: Depth=1
	ds_load_b32 v10, v7
	v_add_nc_u32_e32 v0, v4, v6
	v_add_nc_u32_e32 v6, 0x80, v6
	v_add_nc_u32_e32 v7, 0x200, v7
	s_delay_alu instid0(VALU_DEP_3) | instskip(NEXT) | instid1(VALU_DEP_3)
	v_lshl_add_u64 v[8:9], v[0:1], 2, v[2:3]
	v_cmp_ge_u32_e32 vcc_lo, v6, v5
	s_or_b32 s2, vcc_lo, s2
	s_wait_dscnt 0x0
	flat_store_b32 v[8:9], v10
	s_wait_xcnt 0x0
	s_and_not1_b32 exec_lo, exec_lo, s2
	s_cbranch_execnz .LBB4_15
.LBB4_16:
	s_or_b32 exec_lo, exec_lo, s3
.LBB4_17:
	s_delay_alu instid0(SALU_CYCLE_1)
	s_or_b32 exec_lo, exec_lo, s0
                                        ; implicit-def: $vgpr4
                                        ; implicit-def: $vgpr0_vgpr1
                                        ; implicit-def: $vgpr6
                                        ; implicit-def: $vgpr2_vgpr3
	s_and_not1_saveexec_b32 s0, s1
	s_cbranch_execz .LBB4_2
.LBB4_18:
	v_dual_mov_b32 v9, 0 :: v_dual_lshlrev_b32 v8, 1, v6
	s_mov_b32 s1, 0
	s_mov_b32 s2, exec_lo
	s_delay_alu instid0(VALU_DEP_1) | instskip(SKIP_2) | instid1(VALU_DEP_3)
	v_dual_mov_b32 v5, v9 :: v_dual_mov_b32 v19, v9
	v_dual_mov_b32 v15, v9 :: v_dual_mov_b32 v25, v9
	v_mov_b32_e32 v29, v9
	v_lshl_add_u64 v[20:21], v[4:5], 2, v[0:1]
	v_dual_mov_b32 v33, v9 :: v_dual_mov_b32 v37, v9
	s_delay_alu instid0(VALU_DEP_2)
	v_lshl_add_u64 v[10:11], v[8:9], 2, v[20:21]
	flat_load_b64 v[12:13], v[10:11]
	s_wait_loadcnt_dscnt 0x0
	v_cvt_u32_f32_e32 v5, v12
	v_cvt_u32_f32_e32 v7, v13
	v_and_b32_e32 v12, 1, v6
	s_delay_alu instid0(VALU_DEP_2) | instskip(SKIP_1) | instid1(VALU_DEP_3)
	v_max_u32_e32 v13, v5, v7
	v_min_u32_e32 v5, v5, v7
	v_cmp_eq_u32_e32 vcc_lo, 0, v12
	s_delay_alu instid0(VALU_DEP_2) | instskip(SKIP_1) | instid1(VALU_DEP_2)
	v_dual_cndmask_b32 v7, v13, v5 :: v_dual_sub_nc_u32 v14, v8, v12
	v_cndmask_b32_e32 v5, v5, v13, vcc_lo
	v_lshl_add_u64 v[12:13], v[14:15], 2, v[20:21]
	v_ashrrev_i32_e32 v15, 31, v14
	s_delay_alu instid0(VALU_DEP_4) | instskip(NEXT) | instid1(VALU_DEP_4)
	v_cvt_f32_u32_e32 v16, v7
	v_cvt_f32_u32_e32 v17, v5
	s_delay_alu instid0(VALU_DEP_3)
	v_lshl_add_u64 v[14:15], v[14:15], 2, v[20:21]
	flat_store_b64 v[10:11], v[16:17]
	s_wait_storecnt_dscnt 0x0
	s_barrier_signal -1
	s_barrier_wait -1
	s_clause 0x1
	flat_load_b32 v5, v[12:13]
	flat_load_b32 v7, v[14:15] offset:8
	s_wait_xcnt 0x2
	v_and_b32_e32 v16, 2, v6
	s_delay_alu instid0(VALU_DEP_1) | instskip(SKIP_4) | instid1(VALU_DEP_1)
	v_cmp_eq_u32_e32 vcc_lo, 0, v16
	s_wait_loadcnt_dscnt 0x101
	v_cvt_u32_f32_e32 v5, v5
	s_wait_loadcnt_dscnt 0x0
	v_cvt_u32_f32_e32 v7, v7
	v_max_u32_e32 v17, v5, v7
	v_min_u32_e32 v5, v5, v7
	s_delay_alu instid0(VALU_DEP_1) | instskip(SKIP_1) | instid1(VALU_DEP_2)
	v_cndmask_b32_e32 v7, v17, v5, vcc_lo
	v_cndmask_b32_e32 v5, v5, v17, vcc_lo
	v_cvt_f32_u32_e32 v7, v7
	s_delay_alu instid0(VALU_DEP_2)
	v_cvt_f32_u32_e32 v5, v5
	s_clause 0x1
	flat_store_b32 v[12:13], v7
	flat_store_b32 v[14:15], v5 offset:8
	s_wait_storecnt_dscnt 0x0
	s_barrier_signal -1
	s_barrier_wait -1
	flat_load_b64 v[16:17], v[10:11]
	s_wait_loadcnt_dscnt 0x0
	v_cvt_u32_f32_e32 v5, v16
	v_cvt_u32_f32_e32 v7, v17
	v_and_b32_e32 v16, 3, v6
	s_delay_alu instid0(VALU_DEP_2) | instskip(SKIP_1) | instid1(VALU_DEP_1)
	v_max_u32_e32 v17, v5, v7
	v_min_u32_e32 v5, v5, v7
	v_dual_cndmask_b32 v7, v17, v5 :: v_dual_sub_nc_u32 v18, v8, v16
	v_cndmask_b32_e32 v5, v5, v17, vcc_lo
	s_delay_alu instid0(VALU_DEP_2) | instskip(NEXT) | instid1(VALU_DEP_2)
	v_cvt_f32_u32_e32 v22, v7
	v_cvt_f32_u32_e32 v23, v5
	flat_store_b64 v[10:11], v[22:23]
	s_wait_xcnt 0x0
	v_and_b32_e32 v22, 4, v6
	v_lshl_add_u64 v[16:17], v[18:19], 2, v[20:21]
	v_ashrrev_i32_e32 v19, 31, v18
	s_wait_storecnt_dscnt 0x0
	s_barrier_signal -1
	s_barrier_wait -1
	s_delay_alu instid0(VALU_DEP_1)
	v_lshl_add_u64 v[18:19], v[18:19], 2, v[20:21]
	s_clause 0x1
	flat_load_b32 v5, v[16:17]
	flat_load_b32 v7, v[18:19] offset:16
	v_cmp_eq_u32_e32 vcc_lo, 0, v22
	s_wait_loadcnt_dscnt 0x101
	v_cvt_u32_f32_e32 v5, v5
	s_wait_loadcnt_dscnt 0x0
	v_cvt_u32_f32_e32 v7, v7
	s_delay_alu instid0(VALU_DEP_1) | instskip(SKIP_1) | instid1(VALU_DEP_1)
	v_max_u32_e32 v23, v5, v7
	v_min_u32_e32 v5, v5, v7
	v_dual_cndmask_b32 v7, v23, v5, vcc_lo :: v_dual_cndmask_b32 v5, v5, v23, vcc_lo
	s_delay_alu instid0(VALU_DEP_1) | instskip(NEXT) | instid1(VALU_DEP_2)
	v_cvt_f32_u32_e32 v7, v7
	v_cvt_f32_u32_e32 v5, v5
	s_clause 0x1
	flat_store_b32 v[16:17], v7
	flat_store_b32 v[18:19], v5 offset:16
	s_wait_storecnt_dscnt 0x0
	s_barrier_signal -1
	s_barrier_wait -1
	s_clause 0x1
	flat_load_b32 v5, v[12:13]
	flat_load_b32 v7, v[14:15] offset:8
	s_wait_loadcnt_dscnt 0x101
	v_cvt_u32_f32_e32 v5, v5
	s_wait_loadcnt_dscnt 0x0
	v_cvt_u32_f32_e32 v7, v7
	s_delay_alu instid0(VALU_DEP_1) | instskip(SKIP_1) | instid1(VALU_DEP_1)
	v_max_u32_e32 v22, v5, v7
	v_min_u32_e32 v5, v5, v7
	v_dual_cndmask_b32 v7, v22, v5, vcc_lo :: v_dual_cndmask_b32 v5, v5, v22, vcc_lo
	s_delay_alu instid0(VALU_DEP_1) | instskip(NEXT) | instid1(VALU_DEP_2)
	v_cvt_f32_u32_e32 v7, v7
	v_cvt_f32_u32_e32 v5, v5
	s_clause 0x1
	flat_store_b32 v[12:13], v7
	flat_store_b32 v[14:15], v5 offset:8
	s_wait_storecnt_dscnt 0x0
	s_barrier_signal -1
	s_barrier_wait -1
	flat_load_b64 v[22:23], v[10:11]
	s_wait_loadcnt_dscnt 0x0
	v_cvt_u32_f32_e32 v5, v22
	v_cvt_u32_f32_e32 v7, v23
	v_and_b32_e32 v22, 7, v6
	s_delay_alu instid0(VALU_DEP_2) | instskip(SKIP_1) | instid1(VALU_DEP_1)
	v_max_u32_e32 v23, v5, v7
	v_min_u32_e32 v5, v5, v7
	v_dual_cndmask_b32 v7, v23, v5 :: v_dual_sub_nc_u32 v24, v8, v22
	v_cndmask_b32_e32 v5, v5, v23, vcc_lo
	s_delay_alu instid0(VALU_DEP_2) | instskip(SKIP_1) | instid1(VALU_DEP_4)
	v_lshl_add_u64 v[22:23], v[24:25], 2, v[20:21]
	v_ashrrev_i32_e32 v25, 31, v24
	v_cvt_f32_u32_e32 v26, v7
	s_delay_alu instid0(VALU_DEP_4)
	v_cvt_f32_u32_e32 v27, v5
	flat_store_b64 v[10:11], v[26:27]
	s_wait_xcnt 0x0
	v_and_b32_e32 v26, 8, v6
	v_lshl_add_u64 v[24:25], v[24:25], 2, v[20:21]
	s_wait_storecnt_dscnt 0x0
	s_barrier_signal -1
	s_barrier_wait -1
	s_clause 0x1
	flat_load_b32 v5, v[22:23]
	flat_load_b32 v7, v[24:25] offset:32
	v_cmp_eq_u32_e32 vcc_lo, 0, v26
	s_wait_loadcnt_dscnt 0x101
	v_cvt_u32_f32_e32 v5, v5
	s_wait_loadcnt_dscnt 0x0
	v_cvt_u32_f32_e32 v7, v7
	s_delay_alu instid0(VALU_DEP_1) | instskip(SKIP_1) | instid1(VALU_DEP_1)
	v_max_u32_e32 v27, v5, v7
	v_min_u32_e32 v5, v5, v7
	v_dual_cndmask_b32 v7, v27, v5, vcc_lo :: v_dual_cndmask_b32 v5, v5, v27, vcc_lo
	s_delay_alu instid0(VALU_DEP_1) | instskip(NEXT) | instid1(VALU_DEP_2)
	v_cvt_f32_u32_e32 v7, v7
	v_cvt_f32_u32_e32 v5, v5
	s_clause 0x1
	flat_store_b32 v[22:23], v7
	flat_store_b32 v[24:25], v5 offset:32
	s_wait_storecnt_dscnt 0x0
	s_barrier_signal -1
	s_barrier_wait -1
	s_clause 0x1
	flat_load_b32 v5, v[16:17]
	flat_load_b32 v7, v[18:19] offset:16
	s_wait_loadcnt_dscnt 0x101
	v_cvt_u32_f32_e32 v5, v5
	s_wait_loadcnt_dscnt 0x0
	v_cvt_u32_f32_e32 v7, v7
	s_delay_alu instid0(VALU_DEP_1) | instskip(SKIP_1) | instid1(VALU_DEP_1)
	v_max_u32_e32 v26, v5, v7
	v_min_u32_e32 v5, v5, v7
	v_dual_cndmask_b32 v7, v26, v5, vcc_lo :: v_dual_cndmask_b32 v5, v5, v26, vcc_lo
	s_delay_alu instid0(VALU_DEP_1) | instskip(NEXT) | instid1(VALU_DEP_2)
	v_cvt_f32_u32_e32 v7, v7
	v_cvt_f32_u32_e32 v5, v5
	s_clause 0x1
	flat_store_b32 v[16:17], v7
	flat_store_b32 v[18:19], v5 offset:16
	s_wait_storecnt_dscnt 0x0
	s_barrier_signal -1
	s_barrier_wait -1
	s_clause 0x1
	flat_load_b32 v5, v[12:13]
	flat_load_b32 v7, v[14:15] offset:8
	s_wait_loadcnt_dscnt 0x101
	v_cvt_u32_f32_e32 v5, v5
	s_wait_loadcnt_dscnt 0x0
	v_cvt_u32_f32_e32 v7, v7
	s_delay_alu instid0(VALU_DEP_1) | instskip(SKIP_1) | instid1(VALU_DEP_1)
	v_max_u32_e32 v26, v5, v7
	v_min_u32_e32 v5, v5, v7
	v_dual_cndmask_b32 v7, v26, v5, vcc_lo :: v_dual_cndmask_b32 v5, v5, v26, vcc_lo
	s_delay_alu instid0(VALU_DEP_1) | instskip(NEXT) | instid1(VALU_DEP_2)
	v_cvt_f32_u32_e32 v7, v7
	v_cvt_f32_u32_e32 v5, v5
	s_clause 0x1
	flat_store_b32 v[12:13], v7
	flat_store_b32 v[14:15], v5 offset:8
	s_wait_storecnt_dscnt 0x0
	s_barrier_signal -1
	s_barrier_wait -1
	flat_load_b64 v[26:27], v[10:11]
	s_wait_loadcnt_dscnt 0x0
	v_cvt_u32_f32_e32 v5, v26
	v_cvt_u32_f32_e32 v7, v27
	v_and_b32_e32 v26, 15, v6
	s_delay_alu instid0(VALU_DEP_2) | instskip(SKIP_1) | instid1(VALU_DEP_1)
	v_max_u32_e32 v27, v5, v7
	v_min_u32_e32 v5, v5, v7
	v_dual_cndmask_b32 v7, v27, v5 :: v_dual_sub_nc_u32 v28, v8, v26
	v_cndmask_b32_e32 v5, v5, v27, vcc_lo
	s_delay_alu instid0(VALU_DEP_2) | instskip(SKIP_1) | instid1(VALU_DEP_4)
	v_lshl_add_u64 v[26:27], v[28:29], 2, v[20:21]
	v_ashrrev_i32_e32 v29, 31, v28
	v_cvt_f32_u32_e32 v30, v7
	s_delay_alu instid0(VALU_DEP_4) | instskip(NEXT) | instid1(VALU_DEP_3)
	v_cvt_f32_u32_e32 v31, v5
	v_lshl_add_u64 v[28:29], v[28:29], 2, v[20:21]
	flat_store_b64 v[10:11], v[30:31]
	s_wait_storecnt_dscnt 0x0
	s_barrier_signal -1
	s_barrier_wait -1
	s_clause 0x1
	flat_load_b32 v5, v[26:27]
	flat_load_b32 v7, v[28:29] offset:64
	s_wait_loadcnt_dscnt 0x101
	v_cvt_u32_f32_e32 v5, v5
	s_wait_loadcnt_dscnt 0x0
	v_cvt_u32_f32_e32 v7, v7
	s_delay_alu instid0(VALU_DEP_1) | instskip(SKIP_2) | instid1(VALU_DEP_1)
	v_max_u32_e32 v31, v5, v7
	v_min_u32_e32 v5, v5, v7
	v_and_b32_e32 v30, 16, v6
	v_cmp_eq_u32_e32 vcc_lo, 0, v30
	s_delay_alu instid0(VALU_DEP_3) | instskip(NEXT) | instid1(VALU_DEP_1)
	v_dual_cndmask_b32 v7, v31, v5, vcc_lo :: v_dual_cndmask_b32 v5, v5, v31, vcc_lo
	v_cvt_f32_u32_e32 v7, v7
	s_delay_alu instid0(VALU_DEP_2)
	v_cvt_f32_u32_e32 v5, v5
	s_clause 0x1
	flat_store_b32 v[26:27], v7
	flat_store_b32 v[28:29], v5 offset:64
	s_wait_storecnt_dscnt 0x0
	s_barrier_signal -1
	s_barrier_wait -1
	s_clause 0x1
	flat_load_b32 v5, v[22:23]
	flat_load_b32 v7, v[24:25] offset:32
	s_wait_loadcnt_dscnt 0x101
	v_cvt_u32_f32_e32 v5, v5
	s_wait_loadcnt_dscnt 0x0
	v_cvt_u32_f32_e32 v7, v7
	s_delay_alu instid0(VALU_DEP_1) | instskip(SKIP_1) | instid1(VALU_DEP_1)
	v_max_u32_e32 v30, v5, v7
	v_min_u32_e32 v5, v5, v7
	v_dual_cndmask_b32 v7, v30, v5, vcc_lo :: v_dual_cndmask_b32 v5, v5, v30, vcc_lo
	s_delay_alu instid0(VALU_DEP_1) | instskip(NEXT) | instid1(VALU_DEP_2)
	v_cvt_f32_u32_e32 v7, v7
	v_cvt_f32_u32_e32 v5, v5
	s_clause 0x1
	flat_store_b32 v[22:23], v7
	flat_store_b32 v[24:25], v5 offset:32
	s_wait_storecnt_dscnt 0x0
	s_barrier_signal -1
	s_barrier_wait -1
	s_clause 0x1
	flat_load_b32 v5, v[16:17]
	flat_load_b32 v7, v[18:19] offset:16
	s_wait_loadcnt_dscnt 0x101
	v_cvt_u32_f32_e32 v5, v5
	s_wait_loadcnt_dscnt 0x0
	v_cvt_u32_f32_e32 v7, v7
	s_delay_alu instid0(VALU_DEP_1) | instskip(SKIP_1) | instid1(VALU_DEP_1)
	v_max_u32_e32 v30, v5, v7
	v_min_u32_e32 v5, v5, v7
	v_dual_cndmask_b32 v7, v30, v5, vcc_lo :: v_dual_cndmask_b32 v5, v5, v30, vcc_lo
	s_delay_alu instid0(VALU_DEP_1) | instskip(NEXT) | instid1(VALU_DEP_2)
	v_cvt_f32_u32_e32 v7, v7
	;; [unrolled: 20-line block ×3, first 2 shown]
	v_cvt_f32_u32_e32 v5, v5
	s_clause 0x1
	flat_store_b32 v[12:13], v7
	flat_store_b32 v[14:15], v5 offset:8
	s_wait_storecnt_dscnt 0x0
	s_barrier_signal -1
	s_barrier_wait -1
	flat_load_b64 v[30:31], v[10:11]
	s_wait_loadcnt_dscnt 0x0
	v_cvt_u32_f32_e32 v5, v30
	v_cvt_u32_f32_e32 v7, v31
	v_and_b32_e32 v30, 31, v6
	s_delay_alu instid0(VALU_DEP_2) | instskip(SKIP_1) | instid1(VALU_DEP_1)
	v_max_u32_e32 v31, v5, v7
	v_min_u32_e32 v5, v5, v7
	v_dual_cndmask_b32 v7, v31, v5 :: v_dual_sub_nc_u32 v32, v8, v30
	v_cndmask_b32_e32 v5, v5, v31, vcc_lo
	s_delay_alu instid0(VALU_DEP_2) | instskip(SKIP_1) | instid1(VALU_DEP_4)
	v_lshl_add_u64 v[30:31], v[32:33], 2, v[20:21]
	v_ashrrev_i32_e32 v33, 31, v32
	v_cvt_f32_u32_e32 v34, v7
	s_delay_alu instid0(VALU_DEP_4)
	v_cvt_f32_u32_e32 v35, v5
	flat_store_b64 v[10:11], v[34:35]
	s_wait_xcnt 0x0
	v_and_b32_e32 v34, 32, v6
	v_lshl_add_u64 v[32:33], v[32:33], 2, v[20:21]
	s_wait_storecnt_dscnt 0x0
	s_barrier_signal -1
	s_barrier_wait -1
	s_clause 0x1
	flat_load_b32 v5, v[30:31]
	flat_load_b32 v7, v[32:33] offset:128
	v_cmp_eq_u32_e32 vcc_lo, 0, v34
	s_wait_loadcnt_dscnt 0x101
	v_cvt_u32_f32_e32 v5, v5
	s_wait_loadcnt_dscnt 0x0
	v_cvt_u32_f32_e32 v7, v7
	s_delay_alu instid0(VALU_DEP_1) | instskip(SKIP_1) | instid1(VALU_DEP_1)
	v_max_u32_e32 v35, v5, v7
	v_min_u32_e32 v5, v5, v7
	v_dual_cndmask_b32 v7, v35, v5, vcc_lo :: v_dual_cndmask_b32 v5, v5, v35, vcc_lo
	s_delay_alu instid0(VALU_DEP_1) | instskip(NEXT) | instid1(VALU_DEP_2)
	v_cvt_f32_u32_e32 v7, v7
	v_cvt_f32_u32_e32 v5, v5
	s_clause 0x1
	flat_store_b32 v[30:31], v7
	flat_store_b32 v[32:33], v5 offset:128
	s_wait_storecnt_dscnt 0x0
	s_barrier_signal -1
	s_barrier_wait -1
	s_clause 0x1
	flat_load_b32 v5, v[26:27]
	flat_load_b32 v7, v[28:29] offset:64
	s_wait_loadcnt_dscnt 0x101
	v_cvt_u32_f32_e32 v5, v5
	s_wait_loadcnt_dscnt 0x0
	v_cvt_u32_f32_e32 v7, v7
	s_delay_alu instid0(VALU_DEP_1) | instskip(SKIP_1) | instid1(VALU_DEP_1)
	v_max_u32_e32 v34, v5, v7
	v_min_u32_e32 v5, v5, v7
	v_dual_cndmask_b32 v7, v34, v5, vcc_lo :: v_dual_cndmask_b32 v5, v5, v34, vcc_lo
	s_delay_alu instid0(VALU_DEP_1) | instskip(NEXT) | instid1(VALU_DEP_2)
	v_cvt_f32_u32_e32 v7, v7
	v_cvt_f32_u32_e32 v5, v5
	s_clause 0x1
	flat_store_b32 v[26:27], v7
	flat_store_b32 v[28:29], v5 offset:64
	s_wait_storecnt_dscnt 0x0
	s_barrier_signal -1
	s_barrier_wait -1
	s_clause 0x1
	flat_load_b32 v5, v[22:23]
	flat_load_b32 v7, v[24:25] offset:32
	;; [unrolled: 20-line block ×4, first 2 shown]
	s_wait_loadcnt_dscnt 0x101
	v_cvt_u32_f32_e32 v5, v5
	s_wait_loadcnt_dscnt 0x0
	v_cvt_u32_f32_e32 v7, v7
	s_delay_alu instid0(VALU_DEP_1) | instskip(SKIP_1) | instid1(VALU_DEP_1)
	v_max_u32_e32 v34, v5, v7
	v_min_u32_e32 v5, v5, v7
	v_dual_cndmask_b32 v7, v34, v5, vcc_lo :: v_dual_cndmask_b32 v5, v5, v34, vcc_lo
	s_delay_alu instid0(VALU_DEP_1) | instskip(NEXT) | instid1(VALU_DEP_2)
	v_cvt_f32_u32_e32 v7, v7
	v_cvt_f32_u32_e32 v5, v5
	s_clause 0x1
	flat_store_b32 v[12:13], v7
	flat_store_b32 v[14:15], v5 offset:8
	s_wait_storecnt_dscnt 0x0
	s_barrier_signal -1
	s_barrier_wait -1
	flat_load_b64 v[34:35], v[10:11]
	s_wait_loadcnt_dscnt 0x0
	v_cvt_u32_f32_e32 v5, v34
	v_cvt_u32_f32_e32 v7, v35
	v_and_b32_e32 v34, 63, v6
	s_delay_alu instid0(VALU_DEP_2) | instskip(SKIP_1) | instid1(VALU_DEP_1)
	v_max_u32_e32 v35, v5, v7
	v_min_u32_e32 v5, v5, v7
	v_dual_cndmask_b32 v7, v35, v5 :: v_dual_sub_nc_u32 v36, v8, v34
	v_cndmask_b32_e32 v5, v5, v35, vcc_lo
	s_delay_alu instid0(VALU_DEP_2) | instskip(SKIP_1) | instid1(VALU_DEP_4)
	v_lshl_add_u64 v[34:35], v[36:37], 2, v[20:21]
	v_ashrrev_i32_e32 v37, 31, v36
	v_cvt_f32_u32_e32 v38, v7
	s_delay_alu instid0(VALU_DEP_4) | instskip(NEXT) | instid1(VALU_DEP_3)
	v_cvt_f32_u32_e32 v39, v5
	v_lshl_add_u64 v[36:37], v[36:37], 2, v[20:21]
	flat_store_b64 v[10:11], v[38:39]
	s_wait_storecnt_dscnt 0x0
	s_barrier_signal -1
	s_barrier_wait -1
	s_clause 0x1
	flat_load_b32 v5, v[34:35]
	flat_load_b32 v7, v[36:37] offset:256
	s_wait_loadcnt_dscnt 0x101
	v_cvt_u32_f32_e32 v5, v5
	s_wait_loadcnt_dscnt 0x0
	v_cvt_u32_f32_e32 v7, v7
	s_delay_alu instid0(VALU_DEP_1) | instskip(SKIP_2) | instid1(VALU_DEP_1)
	v_max_u32_e32 v39, v5, v7
	v_min_u32_e32 v5, v5, v7
	v_and_b32_e32 v38, 64, v6
	v_cmp_eq_u32_e32 vcc_lo, 0, v38
	s_delay_alu instid0(VALU_DEP_3) | instskip(NEXT) | instid1(VALU_DEP_1)
	v_dual_cndmask_b32 v7, v39, v5, vcc_lo :: v_dual_cndmask_b32 v5, v5, v39, vcc_lo
	v_cvt_f32_u32_e32 v7, v7
	s_delay_alu instid0(VALU_DEP_2)
	v_cvt_f32_u32_e32 v5, v5
	s_clause 0x1
	flat_store_b32 v[34:35], v7
	flat_store_b32 v[36:37], v5 offset:256
	s_wait_storecnt_dscnt 0x0
	s_barrier_signal -1
	s_barrier_wait -1
	s_clause 0x1
	flat_load_b32 v5, v[30:31]
	flat_load_b32 v7, v[32:33] offset:128
	s_wait_loadcnt_dscnt 0x101
	v_cvt_u32_f32_e32 v5, v5
	s_wait_loadcnt_dscnt 0x0
	v_cvt_u32_f32_e32 v7, v7
	s_delay_alu instid0(VALU_DEP_1) | instskip(SKIP_1) | instid1(VALU_DEP_1)
	v_max_u32_e32 v38, v5, v7
	v_min_u32_e32 v5, v5, v7
	v_dual_cndmask_b32 v7, v38, v5, vcc_lo :: v_dual_cndmask_b32 v5, v5, v38, vcc_lo
	s_delay_alu instid0(VALU_DEP_1) | instskip(NEXT) | instid1(VALU_DEP_2)
	v_cvt_f32_u32_e32 v7, v7
	v_cvt_f32_u32_e32 v5, v5
	s_clause 0x1
	flat_store_b32 v[30:31], v7
	flat_store_b32 v[32:33], v5 offset:128
	s_wait_storecnt_dscnt 0x0
	s_barrier_signal -1
	s_barrier_wait -1
	s_clause 0x1
	flat_load_b32 v5, v[26:27]
	flat_load_b32 v7, v[28:29] offset:64
	s_wait_loadcnt_dscnt 0x101
	v_cvt_u32_f32_e32 v5, v5
	s_wait_loadcnt_dscnt 0x0
	v_cvt_u32_f32_e32 v7, v7
	s_delay_alu instid0(VALU_DEP_1) | instskip(SKIP_1) | instid1(VALU_DEP_1)
	v_max_u32_e32 v38, v5, v7
	v_min_u32_e32 v5, v5, v7
	v_dual_cndmask_b32 v7, v38, v5, vcc_lo :: v_dual_cndmask_b32 v5, v5, v38, vcc_lo
	s_delay_alu instid0(VALU_DEP_1) | instskip(NEXT) | instid1(VALU_DEP_2)
	v_cvt_f32_u32_e32 v7, v7
	;; [unrolled: 20-line block ×5, first 2 shown]
	v_cvt_f32_u32_e32 v5, v5
	s_clause 0x1
	flat_store_b32 v[12:13], v7
	flat_store_b32 v[14:15], v5 offset:8
	s_wait_storecnt_dscnt 0x0
	s_barrier_signal -1
	s_barrier_wait -1
	flat_load_b64 v[38:39], v[10:11]
	s_wait_loadcnt_dscnt 0x0
	v_cvt_u32_f32_e32 v5, v38
	v_cvt_u32_f32_e32 v7, v39
	v_and_b32_e32 v38, 0x7f, v6
	s_delay_alu instid0(VALU_DEP_2) | instskip(SKIP_1) | instid1(VALU_DEP_1)
	v_max_u32_e32 v39, v5, v7
	v_min_u32_e32 v5, v5, v7
	v_dual_cndmask_b32 v7, v39, v5 :: v_dual_sub_nc_u32 v8, v8, v38
	s_delay_alu instid0(VALU_DEP_1) | instskip(SKIP_2) | instid1(VALU_DEP_4)
	v_dual_cndmask_b32 v5, v5, v39, vcc_lo :: v_dual_ashrrev_i32 v39, 31, v8
	v_mov_b32_e32 v38, v8
	v_lshl_add_u64 v[50:51], v[8:9], 2, v[20:21]
	v_cvt_f32_u32_e32 v48, v7
	s_delay_alu instid0(VALU_DEP_4) | instskip(NEXT) | instid1(VALU_DEP_4)
	v_cvt_f32_u32_e32 v49, v5
	v_lshl_add_u64 v[20:21], v[38:39], 2, v[20:21]
	flat_store_b64 v[10:11], v[48:49]
	s_wait_storecnt_dscnt 0x0
	s_barrier_signal -1
	s_barrier_wait -1
	s_clause 0x1
	flat_load_b32 v5, v[50:51]
	flat_load_b32 v7, v[20:21] offset:512
	s_wait_loadcnt_dscnt 0x101
	v_cvt_u32_f32_e32 v5, v5
	s_wait_loadcnt_dscnt 0x0
	v_cvt_u32_f32_e32 v7, v7
	s_delay_alu instid0(VALU_DEP_1) | instskip(SKIP_1) | instid1(VALU_DEP_2)
	v_min_u32_e32 v8, v5, v7
	v_max_u32_e32 v5, v5, v7
	v_cvt_f32_u32_e32 v7, v8
	s_delay_alu instid0(VALU_DEP_2)
	v_cvt_f32_u32_e32 v5, v5
	s_clause 0x1
	flat_store_b32 v[50:51], v7
	flat_store_b32 v[20:21], v5 offset:512
	s_wait_storecnt_dscnt 0x0
	s_barrier_signal -1
	s_barrier_wait -1
	s_clause 0x1
	flat_load_b32 v5, v[34:35]
	flat_load_b32 v7, v[36:37] offset:256
	s_wait_loadcnt_dscnt 0x101
	v_cvt_u32_f32_e32 v5, v5
	s_wait_loadcnt_dscnt 0x0
	v_cvt_u32_f32_e32 v7, v7
	s_delay_alu instid0(VALU_DEP_1) | instskip(SKIP_1) | instid1(VALU_DEP_2)
	v_min_u32_e32 v8, v5, v7
	v_max_u32_e32 v5, v5, v7
	v_cvt_f32_u32_e32 v7, v8
	s_delay_alu instid0(VALU_DEP_2)
	v_cvt_f32_u32_e32 v5, v5
	s_clause 0x1
	flat_store_b32 v[34:35], v7
	flat_store_b32 v[36:37], v5 offset:256
	;; [unrolled: 19-line block ×7, first 2 shown]
	s_wait_storecnt_dscnt 0x0
	s_barrier_signal -1
	s_barrier_wait -1
	flat_load_b64 v[12:13], v[10:11]
	s_wait_loadcnt_dscnt 0x0
	v_cvt_u32_f32_e32 v5, v12
	v_cvt_u32_f32_e32 v7, v13
	s_delay_alu instid0(VALU_DEP_1) | instskip(SKIP_1) | instid1(VALU_DEP_2)
	v_max_u32_e32 v8, v5, v7
	v_min_u32_e32 v5, v5, v7
	v_cvt_f32_u32_e32 v13, v8
	s_delay_alu instid0(VALU_DEP_2)
	v_cvt_f32_u32_e32 v12, v5
	flat_store_b64 v[10:11], v[12:13]
	s_wait_storecnt_dscnt 0x0
	s_barrier_signal -1
	s_barrier_wait -1
	s_wait_xcnt 0x0
	v_cmpx_gt_u32_e32 0x100, v6
	s_cbranch_execz .LBB4_20
.LBB4_19:                               ; =>This Inner Loop Header: Depth=1
	v_add_nc_u32_e32 v7, 0x80, v6
	v_add_nc_u32_e32 v8, v4, v6
	v_cmp_lt_u32_e32 vcc_lo, 0x7f, v6
	s_delay_alu instid0(VALU_DEP_3) | instskip(NEXT) | instid1(VALU_DEP_3)
	v_mov_b32_e32 v6, v7
	v_lshlrev_b64_e32 v[10:11], 2, v[8:9]
	s_or_b32 s1, vcc_lo, s1
	s_delay_alu instid0(VALU_DEP_1)
	v_add_nc_u64_e32 v[12:13], v[0:1], v[10:11]
	v_add_nc_u64_e32 v[10:11], v[2:3], v[10:11]
	flat_load_b32 v5, v[12:13]
	s_wait_loadcnt_dscnt 0x0
	flat_store_b32 v[10:11], v5
	s_wait_xcnt 0x0
	s_and_not1_b32 exec_lo, exec_lo, s1
	s_cbranch_execnz .LBB4_19
.LBB4_20:
	s_or_b32 exec_lo, exec_lo, s2
	s_delay_alu instid0(SALU_CYCLE_1)
	s_or_b32 exec_lo, exec_lo, s0
	s_wait_dscnt 0x0
	s_set_pc_i64 s[30:31]
.Lfunc_end4:
	.size	_Z14sort_thresholdIfEvPT_S1_jjS1_j, .Lfunc_end4-_Z14sort_thresholdIfEvPT_S1_jjS1_j
                                        ; -- End function
	.set .L_Z14sort_thresholdIfEvPT_S1_jjS1_j.num_vgpr, 52
	.set .L_Z14sort_thresholdIfEvPT_S1_jjS1_j.num_agpr, 0
	.set .L_Z14sort_thresholdIfEvPT_S1_jjS1_j.numbered_sgpr, 32
	.set .L_Z14sort_thresholdIfEvPT_S1_jjS1_j.num_named_barrier, 0
	.set .L_Z14sort_thresholdIfEvPT_S1_jjS1_j.private_seg_size, 0
	.set .L_Z14sort_thresholdIfEvPT_S1_jjS1_j.uses_vcc, 1
	.set .L_Z14sort_thresholdIfEvPT_S1_jjS1_j.uses_flat_scratch, 1
	.set .L_Z14sort_thresholdIfEvPT_S1_jjS1_j.has_dyn_sized_stack, 0
	.set .L_Z14sort_thresholdIfEvPT_S1_jjS1_j.has_recursion, 0
	.set .L_Z14sort_thresholdIfEvPT_S1_jjS1_j.has_indirect_call, 0
	.section	.AMDGPU.csdata,"",@progbits
; Function info:
; codeLenInByte = 7704
; TotalNumSgprs: 34
; NumVgprs: 52
; ScratchSize: 0
; MemoryBound: 0
	.section	.text._Z13lqsort_kernelIfEvPT_S1_P11work_recordIS0_E,"axG",@progbits,_Z13lqsort_kernelIfEvPT_S1_P11work_recordIS0_E,comdat
	.protected	_Z13lqsort_kernelIfEvPT_S1_P11work_recordIS0_E ; -- Begin function _Z13lqsort_kernelIfEvPT_S1_P11work_recordIS0_E
	.globl	_Z13lqsort_kernelIfEvPT_S1_P11work_recordIS0_E
	.p2align	8
	.type	_Z13lqsort_kernelIfEvPT_S1_P11work_recordIS0_E,@function
_Z13lqsort_kernelIfEvPT_S1_P11work_recordIS0_E: ; @_Z13lqsort_kernelIfEvPT_S1_P11work_recordIS0_E
; %bb.0:
	s_clause 0x1
	s_load_b64 s[2:3], s[0:1], 0x10
	s_load_b128 s[16:19], s[0:1], 0x0
	s_bfe_u32 s4, ttmp6, 0x4000c
	s_and_b32 s5, ttmp6, 15
	s_add_co_i32 s4, s4, 1
	s_getreg_b32 s6, hwreg(HW_REG_IB_STS2, 6, 4)
	s_mul_i32 s4, ttmp9, s4
	v_dual_mov_b32 v40, v0 :: v_dual_mov_b32 v0, 0
	s_add_co_i32 s4, s5, s4
	s_cmp_eq_u32 s6, 0
	s_mov_b32 s5, 0
	s_cselect_b32 s4, ttmp9, s4
	s_mov_b32 s32, 0
	s_lshl_b64 s[4:5], s[4:5], 4
	s_wait_kmcnt 0x0
	s_add_nc_u64 s[2:3], s[2:3], s[4:5]
	v_cmp_eq_u32_e64 s5, 0, v40
	s_clause 0x1
	global_load_b64 v[2:3], v0, s[2:3]
	global_load_b32 v4, v0, s[2:3] offset:12
	s_wait_loadcnt 0x1
	v_readfirstlane_b32 s20, v2
	s_delay_alu instid0(VALU_DEP_1)
	v_subrev_nc_u32_e32 v1, s20, v3
	s_wait_xcnt 0x0
	s_and_saveexec_b32 s2, s5
	s_cbranch_execz .LBB5_2
; %bb.1:
	v_mov_b32_e32 v2, 1
	ds_store_b32 v0, v0 offset:15364
	ds_store_b96 v0, v[0:2] offset:15904
.LBB5_2:
	s_or_b32 exec_lo, exec_lo, s2
	s_wait_loadcnt 0x0
	v_cmp_eq_u32_e32 vcc_lo, 1, v4
	v_cmp_lt_u32_e64 s2, v40, v1
	s_mov_b32 s3, -1
	s_cbranch_vccnz .LBB5_19
; %bb.3:
	s_and_saveexec_b32 s3, s2
	s_cbranch_execz .LBB5_18
; %bb.4:
	v_xad_u32 v0, v40, -1, v3
	s_mov_b32 s8, -1
	s_mov_b32 s6, exec_lo
	s_delay_alu instid0(VALU_DEP_1) | instskip(SKIP_1) | instid1(VALU_DEP_2)
	v_subrev_nc_u32_e32 v2, s20, v0
	v_mov_b32_e32 v0, v40
	v_cmp_gt_u32_e64 s4, 0xc80, v2
	v_cmpx_lt_u32_e32 0xc7f, v2
	s_cbranch_execz .LBB5_15
; %bb.5:
	v_dual_sub_nc_u32 v0, v40, v3 :: v_dual_add_nc_u32 v4, s20, v40
	s_delay_alu instid0(VALU_DEP_1) | instskip(NEXT) | instid1(VALU_DEP_1)
	v_add_nc_u32_e32 v0, s20, v0
	v_or_b32_e32 v0, 0x7f, v0
	s_delay_alu instid0(VALU_DEP_1)
	v_cmp_ge_u32_e32 vcc_lo, v0, v4
	v_mov_b32_e32 v0, v40
	s_and_saveexec_b32 s7, vcc_lo
	s_cbranch_execz .LBB5_14
; %bb.6:
	v_lshrrev_b32_e32 v0, 7, v2
	v_dual_mov_b32 v6, 0 :: v_dual_add_nc_u32 v41, 0x80, v40
	s_delay_alu instid0(VALU_DEP_2) | instskip(NEXT) | instid1(VALU_DEP_1)
	v_add_nc_u32_e32 v2, -1, v0
	v_lshrrev_b32_e32 v4, 1, v2
	v_cmp_lt_u32_e32 vcc_lo, 13, v2
	s_delay_alu instid0(VALU_DEP_2)
	v_add_nc_u32_e32 v2, 1, v4
	v_mov_b64_e32 v[4:5], v[40:41]
	s_and_saveexec_b32 s8, vcc_lo
	s_cbranch_execz .LBB5_10
; %bb.7:
	v_mov_b64_e32 v[4:5], v[40:41]
	v_dual_lshlrev_b32 v9, 2, v40 :: v_dual_bitop2_b32 v8, -8, v2 bitop3:0x40
	v_mov_b32_e32 v7, 0
	s_add_co_i32 s9, s20, 0x100
	s_add_co_i32 s10, s20, 0x200
	;; [unrolled: 1-line block ×7, first 2 shown]
	s_mov_b32 s11, s9
	s_mov_b32 s12, s10
	;; [unrolled: 1-line block ×9, first 2 shown]
.LBB5_8:                                ; =>This Inner Loop Header: Depth=1
	v_dual_add_nc_u32 v10, s20, v5 :: v_dual_add_nc_u32 v6, s20, v4
	v_dual_mov_b32 v25, v7 :: v_dual_mov_b32 v11, v7
	v_dual_mov_b32 v13, v7 :: v_dual_add_nc_u32 v12, s11, v5
	v_add_nc_u32_e32 v14, s12, v5
	s_delay_alu instid0(VALU_DEP_4)
	v_lshl_add_u64 v[26:27], v[6:7], 2, s[18:19]
	v_add_nc_u32_e32 v6, s9, v4
	v_lshl_add_u64 v[10:11], v[10:11], 2, s[18:19]
	s_clause 0x1
	global_load_b32 v30, v[26:27], off
	global_load_b32 v31, v[10:11], off
	v_lshl_add_u64 v[28:29], v[6:7], 2, s[18:19]
	v_dual_mov_b32 v15, v7 :: v_dual_add_nc_u32 v6, s10, v4
	v_add_nc_u32_e32 v16, s15, v5
	v_lshl_add_u64 v[12:13], v[12:13], 2, s[18:19]
	s_clause 0x1
	global_load_b32 v26, v[28:29], off
	global_load_b32 v27, v[12:13], off
	s_wait_xcnt 0x2
	v_lshl_add_u64 v[10:11], v[6:7], 2, s[18:19]
	v_dual_mov_b32 v17, v7 :: v_dual_add_nc_u32 v6, s13, v4
	v_add_nc_u32_e32 v18, s21, v5
	v_lshl_add_u64 v[14:15], v[14:15], 2, s[18:19]
	s_clause 0x1
	global_load_b32 v28, v[10:11], off
	global_load_b32 v29, v[14:15], off
	s_wait_xcnt 0x2
	v_lshl_add_u64 v[12:13], v[6:7], 2, s[18:19]
	v_dual_mov_b32 v19, v7 :: v_dual_add_nc_u32 v6, s14, v4
	v_add_nc_u32_e32 v20, s24, v5
	v_lshl_add_u64 v[16:17], v[16:17], 2, s[18:19]
	s_clause 0x1
	global_load_b32 v14, v[12:13], off
	global_load_b32 v15, v[16:17], off
	v_lshl_add_u64 v[10:11], v[6:7], 2, s[18:19]
	v_dual_mov_b32 v21, v7 :: v_dual_add_nc_u32 v6, s22, v4
	v_add_nc_u32_e32 v22, s25, v5
	v_lshl_add_u64 v[18:19], v[18:19], 2, s[18:19]
	v_dual_mov_b32 v23, v7 :: v_dual_add_nc_u32 v24, s28, v5
	s_wait_xcnt 0x1
	v_lshl_add_u64 v[12:13], v[6:7], 2, s[18:19]
	v_add_nc_u32_e32 v6, s23, v4
	s_clause 0x1
	global_load_b32 v16, v[10:11], off
	global_load_b32 v17, v[18:19], off
	v_lshl_add_u64 v[20:21], v[20:21], 2, s[18:19]
	v_lshl_add_u64 v[22:23], v[22:23], 2, s[18:19]
	s_clause 0x1
	global_load_b32 v18, v[12:13], off
	global_load_b32 v19, v[20:21], off
	v_lshl_add_u64 v[10:11], v[6:7], 2, s[18:19]
	v_add_nc_u32_e32 v6, s26, v4
	v_lshl_add_u64 v[24:25], v[24:25], 2, s[18:19]
	s_add_co_i32 s29, s29, 16
	v_add_nc_u32_e32 v8, -8, v8
	v_add_nc_u32_e32 v5, 0x800, v5
	s_wait_xcnt 0x1
	v_lshl_add_u64 v[12:13], v[6:7], 2, s[18:19]
	s_clause 0x3
	global_load_b32 v20, v[10:11], off
	global_load_b32 v21, v[22:23], off
	;; [unrolled: 1-line block ×4, first 2 shown]
	v_mov_b32_e32 v6, s29
	v_cmp_eq_u32_e32 vcc_lo, 0, v8
	v_add_nc_u32_e32 v4, 0x800, v4
	s_wait_loadcnt 0xe
	ds_store_2addr_stride64_b32 v9, v30, v31 offset1:2
	s_wait_loadcnt 0xc
	ds_store_2addr_stride64_b32 v9, v26, v27 offset0:4 offset1:6
	s_wait_loadcnt 0xa
	ds_store_2addr_stride64_b32 v9, v28, v29 offset0:8 offset1:10
	;; [unrolled: 2-line block ×7, first 2 shown]
	v_add_nc_u32_e32 v9, 0x2000, v9
	s_or_b32 s27, vcc_lo, s27
	s_wait_xcnt 0x0
	s_and_not1_b32 exec_lo, exec_lo, s27
	s_cbranch_execnz .LBB5_8
; %bb.9:
	s_or_b32 exec_lo, exec_lo, s27
.LBB5_10:
	s_delay_alu instid0(SALU_CYCLE_1) | instskip(SKIP_3) | instid1(VALU_DEP_1)
	s_or_b32 exec_lo, exec_lo, s8
	v_and_b32_e32 v2, 7, v2
	s_mov_b32 s9, 0
	s_mov_b32 s8, exec_lo
	v_cmpx_ne_u32_e32 0, v2
	s_cbranch_execz .LBB5_13
; %bb.11:
	v_lshlrev_b32_e32 v7, 2, v40
	s_delay_alu instid0(VALU_DEP_1)
	v_lshl_add_u32 v8, v6, 9, v7
	v_mov_b32_e32 v7, 0
.LBB5_12:                               ; =>This Inner Loop Header: Depth=1
	v_dual_add_nc_u32 v10, s20, v5 :: v_dual_add_nc_u32 v6, s20, v4
	s_delay_alu instid0(VALU_DEP_2) | instskip(SKIP_2) | instid1(VALU_DEP_4)
	v_dual_mov_b32 v11, v7 :: v_dual_add_nc_u32 v2, -1, v2
	v_add_nc_u32_e32 v5, 0x100, v5
	v_add_nc_u32_e32 v4, 0x100, v4
	v_lshl_add_u64 v[12:13], v[6:7], 2, s[18:19]
	s_delay_alu instid0(VALU_DEP_4)
	v_lshl_add_u64 v[10:11], v[10:11], 2, s[18:19]
	v_cmp_eq_u32_e32 vcc_lo, 0, v2
	s_clause 0x1
	global_load_b32 v6, v[12:13], off
	global_load_b32 v9, v[10:11], off
	s_or_b32 s9, vcc_lo, s9
	s_wait_loadcnt 0x0
	ds_store_2addr_stride64_b32 v8, v6, v9 offset1:2
	v_add_nc_u32_e32 v8, 0x400, v8
	s_and_not1_b32 exec_lo, exec_lo, s9
	s_cbranch_execnz .LBB5_12
.LBB5_13:
	s_or_b32 exec_lo, exec_lo, s8
	v_add_nc_u32_e32 v0, 1, v0
	s_delay_alu instid0(VALU_DEP_1) | instskip(NEXT) | instid1(VALU_DEP_1)
	v_and_b32_e32 v2, 0x3fffffe, v0
	v_cmp_ne_u32_e32 vcc_lo, v0, v2
	v_lshl_add_u32 v0, v2, 7, v40
	s_or_not1_b32 s8, vcc_lo, exec_lo
.LBB5_14:
	s_or_b32 exec_lo, exec_lo, s7
	s_delay_alu instid0(SALU_CYCLE_1) | instskip(SKIP_1) | instid1(SALU_CYCLE_1)
	s_and_not1_b32 s4, s4, exec_lo
	s_and_b32 s7, s8, exec_lo
	s_or_b32 s4, s4, s7
.LBB5_15:
	s_or_b32 exec_lo, exec_lo, s6
	s_delay_alu instid0(SALU_CYCLE_1)
	s_and_b32 exec_lo, exec_lo, s4
	s_cbranch_execz .LBB5_18
; %bb.16:
	v_lshlrev_b32_e32 v2, 2, v0
	s_mov_b32 s4, 0
.LBB5_17:                               ; =>This Inner Loop Header: Depth=1
	v_add_nc_u32_e32 v4, s20, v0
	v_add_nc_u32_e32 v0, 0x80, v0
	global_load_b32 v4, v4, s[18:19] scale_offset
	v_cmp_ge_u32_e32 vcc_lo, v0, v1
	s_or_b32 s4, vcc_lo, s4
	s_wait_loadcnt 0x0
	ds_store_b32 v2, v4
	v_add_nc_u32_e32 v2, 0x200, v2
	s_and_not1_b32 exec_lo, exec_lo, s4
	s_cbranch_execnz .LBB5_17
.LBB5_18:
	s_or_b32 exec_lo, exec_lo, s3
	s_mov_b32 s3, 0
.LBB5_19:
	s_delay_alu instid0(SALU_CYCLE_1)
	s_and_not1_b32 vcc_lo, exec_lo, s3
	s_cbranch_vccnz .LBB5_36
; %bb.20:
	s_and_saveexec_b32 s3, s2
	s_cbranch_execz .LBB5_35
; %bb.21:
	v_xad_u32 v0, v40, -1, v3
	s_mov_b32 s7, -1
	s_mov_b32 s4, exec_lo
	s_delay_alu instid0(VALU_DEP_1) | instskip(SKIP_1) | instid1(VALU_DEP_2)
	v_subrev_nc_u32_e32 v2, s20, v0
	v_mov_b32_e32 v0, v40
	v_cmp_gt_u32_e64 s2, 0xc80, v2
	v_cmpx_lt_u32_e32 0xc7f, v2
	s_cbranch_execz .LBB5_32
; %bb.22:
	v_dual_sub_nc_u32 v0, v40, v3 :: v_dual_add_nc_u32 v3, s20, v40
	s_delay_alu instid0(VALU_DEP_1) | instskip(NEXT) | instid1(VALU_DEP_1)
	v_add_nc_u32_e32 v0, s20, v0
	v_or_b32_e32 v0, 0x7f, v0
	s_delay_alu instid0(VALU_DEP_1)
	v_cmp_ge_u32_e32 vcc_lo, v0, v3
	v_mov_b32_e32 v0, v40
	s_and_saveexec_b32 s6, vcc_lo
	s_cbranch_execz .LBB5_31
; %bb.23:
	v_lshrrev_b32_e32 v0, 7, v2
	v_dual_mov_b32 v4, 0 :: v_dual_add_nc_u32 v41, 0x80, v40
	s_delay_alu instid0(VALU_DEP_2) | instskip(NEXT) | instid1(VALU_DEP_1)
	v_add_nc_u32_e32 v2, -1, v0
	v_lshrrev_b32_e32 v3, 1, v2
	v_cmp_lt_u32_e32 vcc_lo, 13, v2
	s_delay_alu instid0(VALU_DEP_2)
	v_add_nc_u32_e32 v6, 1, v3
	v_mov_b64_e32 v[2:3], v[40:41]
	s_and_saveexec_b32 s7, vcc_lo
	s_cbranch_execz .LBB5_27
; %bb.24:
	v_mov_b64_e32 v[2:3], v[40:41]
	v_dual_lshlrev_b32 v8, 2, v40 :: v_dual_bitop2_b32 v7, -8, v6 bitop3:0x40
	v_mov_b32_e32 v5, 0
	s_add_co_i32 s8, s20, 0x100
	s_add_co_i32 s9, s20, 0x200
	;; [unrolled: 1-line block ×7, first 2 shown]
	s_mov_b32 s10, s8
	s_mov_b32 s11, s9
	;; [unrolled: 1-line block ×9, first 2 shown]
.LBB5_25:                               ; =>This Inner Loop Header: Depth=1
	v_dual_add_nc_u32 v10, s20, v3 :: v_dual_add_nc_u32 v4, s20, v2
	v_dual_mov_b32 v25, v5 :: v_dual_mov_b32 v11, v5
	v_dual_mov_b32 v13, v5 :: v_dual_add_nc_u32 v12, s10, v3
	v_add_nc_u32_e32 v14, s11, v3
	s_delay_alu instid0(VALU_DEP_4)
	v_lshl_add_u64 v[26:27], v[4:5], 2, s[16:17]
	v_add_nc_u32_e32 v4, s8, v2
	v_lshl_add_u64 v[10:11], v[10:11], 2, s[16:17]
	s_clause 0x1
	global_load_b32 v9, v[26:27], off
	global_load_b32 v30, v[10:11], off
	v_lshl_add_u64 v[28:29], v[4:5], 2, s[16:17]
	v_dual_add_nc_u32 v4, s9, v2 :: v_dual_add_nc_u32 v7, -8, v7
	v_dual_mov_b32 v15, v5 :: v_dual_add_nc_u32 v16, s14, v3
	v_lshl_add_u64 v[12:13], v[12:13], 2, s[16:17]
	s_wait_xcnt 0x0
	s_delay_alu instid0(VALU_DEP_3)
	v_lshl_add_u64 v[10:11], v[4:5], 2, s[16:17]
	v_add_nc_u32_e32 v4, s12, v2
	s_clause 0x1
	global_load_b32 v26, v[28:29], off
	global_load_b32 v27, v[12:13], off
	v_dual_mov_b32 v17, v5 :: v_dual_add_nc_u32 v18, s15, v3
	s_wait_xcnt 0x0
	v_lshl_add_u64 v[12:13], v[4:5], 2, s[16:17]
	v_add_nc_u32_e32 v4, s13, v2
	v_lshl_add_u64 v[14:15], v[14:15], 2, s[16:17]
	s_clause 0x1
	global_load_b32 v28, v[10:11], off
	global_load_b32 v29, v[14:15], off
	s_wait_xcnt 0x1
	v_lshl_add_u64 v[10:11], v[4:5], 2, s[16:17]
	v_dual_mov_b32 v19, v5 :: v_dual_add_nc_u32 v4, s18, v2
	v_add_nc_u32_e32 v20, s21, v3
	v_lshl_add_u64 v[16:17], v[16:17], 2, s[16:17]
	s_clause 0x1
	global_load_b32 v14, v[12:13], off
	global_load_b32 v15, v[16:17], off
	s_wait_xcnt 0x1
	v_lshl_add_u64 v[12:13], v[4:5], 2, s[16:17]
	v_dual_mov_b32 v21, v5 :: v_dual_add_nc_u32 v4, s19, v2
	v_add_nc_u32_e32 v22, s22, v3
	v_lshl_add_u64 v[18:19], v[18:19], 2, s[16:17]
	v_dual_mov_b32 v23, v5 :: v_dual_add_nc_u32 v24, s25, v3
	s_clause 0x1
	global_load_b32 v16, v[10:11], off
	global_load_b32 v17, v[18:19], off
	s_wait_xcnt 0x1
	v_lshl_add_u64 v[10:11], v[4:5], 2, s[16:17]
	v_add_nc_u32_e32 v4, s23, v2
	v_lshl_add_u64 v[20:21], v[20:21], 2, s[16:17]
	v_lshl_add_u64 v[22:23], v[22:23], 2, s[16:17]
	s_clause 0x1
	global_load_b32 v18, v[12:13], off
	global_load_b32 v19, v[20:21], off
	s_wait_xcnt 0x1
	v_lshl_add_u64 v[12:13], v[4:5], 2, s[16:17]
	v_lshl_add_u64 v[24:25], v[24:25], 2, s[16:17]
	s_clause 0x3
	global_load_b32 v20, v[10:11], off
	global_load_b32 v21, v[22:23], off
	;; [unrolled: 1-line block ×4, first 2 shown]
	s_add_co_i32 s26, s26, 16
	v_cmp_eq_u32_e32 vcc_lo, 0, v7
	v_dual_mov_b32 v4, s26 :: v_dual_add_nc_u32 v3, 0x800, v3
	v_add_nc_u32_e32 v2, 0x800, v2
	s_wait_loadcnt 0xe
	ds_store_2addr_stride64_b32 v8, v9, v30 offset1:2
	s_wait_loadcnt 0xc
	ds_store_2addr_stride64_b32 v8, v26, v27 offset0:4 offset1:6
	s_wait_loadcnt 0xa
	ds_store_2addr_stride64_b32 v8, v28, v29 offset0:8 offset1:10
	;; [unrolled: 2-line block ×7, first 2 shown]
	v_add_nc_u32_e32 v8, 0x2000, v8
	s_or_b32 s24, vcc_lo, s24
	s_delay_alu instid0(SALU_CYCLE_1)
	s_and_not1_b32 exec_lo, exec_lo, s24
	s_cbranch_execnz .LBB5_25
; %bb.26:
	s_or_b32 exec_lo, exec_lo, s24
.LBB5_27:
	s_delay_alu instid0(SALU_CYCLE_1) | instskip(SKIP_3) | instid1(VALU_DEP_1)
	s_or_b32 exec_lo, exec_lo, s7
	v_and_b32_e32 v6, 7, v6
	s_mov_b32 s8, 0
	s_mov_b32 s7, exec_lo
	v_cmpx_ne_u32_e32 0, v6
	s_cbranch_execz .LBB5_30
; %bb.28:
	v_lshlrev_b32_e32 v5, 2, v40
	s_delay_alu instid0(VALU_DEP_1)
	v_lshl_add_u32 v7, v4, 9, v5
	v_mov_b32_e32 v5, 0
.LBB5_29:                               ; =>This Inner Loop Header: Depth=1
	v_dual_add_nc_u32 v8, s20, v3 :: v_dual_add_nc_u32 v4, s20, v2
	s_delay_alu instid0(VALU_DEP_2) | instskip(SKIP_2) | instid1(VALU_DEP_4)
	v_dual_mov_b32 v9, v5 :: v_dual_add_nc_u32 v6, -1, v6
	v_add_nc_u32_e32 v3, 0x100, v3
	v_add_nc_u32_e32 v2, 0x100, v2
	v_lshl_add_u64 v[10:11], v[4:5], 2, s[16:17]
	s_delay_alu instid0(VALU_DEP_4)
	v_lshl_add_u64 v[8:9], v[8:9], 2, s[16:17]
	v_cmp_eq_u32_e32 vcc_lo, 0, v6
	s_clause 0x1
	global_load_b32 v4, v[10:11], off
	global_load_b32 v12, v[8:9], off
	s_or_b32 s8, vcc_lo, s8
	s_wait_loadcnt 0x0
	ds_store_2addr_stride64_b32 v7, v4, v12 offset1:2
	v_add_nc_u32_e32 v7, 0x400, v7
	s_and_not1_b32 exec_lo, exec_lo, s8
	s_cbranch_execnz .LBB5_29
.LBB5_30:
	s_or_b32 exec_lo, exec_lo, s7
	v_add_nc_u32_e32 v0, 1, v0
	s_delay_alu instid0(VALU_DEP_1) | instskip(NEXT) | instid1(VALU_DEP_1)
	v_and_b32_e32 v2, 0x3fffffe, v0
	v_cmp_ne_u32_e32 vcc_lo, v0, v2
	v_lshl_add_u32 v0, v2, 7, v40
	s_or_not1_b32 s7, vcc_lo, exec_lo
.LBB5_31:
	s_or_b32 exec_lo, exec_lo, s6
	s_delay_alu instid0(SALU_CYCLE_1) | instskip(SKIP_1) | instid1(SALU_CYCLE_1)
	s_and_not1_b32 s2, s2, exec_lo
	s_and_b32 s6, s7, exec_lo
	s_or_b32 s2, s2, s6
.LBB5_32:
	s_or_b32 exec_lo, exec_lo, s4
	s_delay_alu instid0(SALU_CYCLE_1)
	s_and_b32 exec_lo, exec_lo, s2
	s_cbranch_execz .LBB5_35
; %bb.33:
	v_lshlrev_b32_e32 v2, 2, v0
	s_mov_b32 s2, 0
.LBB5_34:                               ; =>This Inner Loop Header: Depth=1
	v_add_nc_u32_e32 v3, s20, v0
	v_add_nc_u32_e32 v0, 0x80, v0
	global_load_b32 v3, v3, s[16:17] scale_offset
	v_cmp_ge_u32_e32 vcc_lo, v0, v1
	s_or_b32 s2, vcc_lo, s2
	s_wait_loadcnt 0x0
	ds_store_b32 v2, v3
	v_add_nc_u32_e32 v2, 0x200, v2
	s_and_not1_b32 exec_lo, exec_lo, s2
	s_cbranch_execnz .LBB5_34
.LBB5_35:
	s_or_b32 exec_lo, exec_lo, s3
.LBB5_36:
	v_mov_b32_e32 v45, 0
	s_wait_dscnt 0x0
	s_barrier_signal -1
	s_barrier_wait -1
	ds_load_b32 v0, v45 offset:15364
	s_mov_b32 s21, 0
	s_wait_dscnt 0x0
	v_cmp_gt_i32_e32 vcc_lo, 0, v0
	s_cbranch_vccnz .LBB5_114
; %bb.37:
	v_dual_lshlrev_b32 v1, 2, v40 :: v_dual_bitop2_b32 v2, 1, v40 bitop3:0x40
	v_and_b32_e32 v3, 3, v40
	s_mov_b64 s[14:15], src_shared_base
	v_add_nc_u32_e32 v65, 0x80, v40
	s_delay_alu instid0(VALU_DEP_3)
	v_add_nc_u32_e32 v41, 0x3a00, v1
	v_cmp_eq_u32_e64 s6, 1, v2
	v_and_b32_e32 v2, 7, v40
	v_cmp_eq_u32_e64 s7, 3, v3
	v_and_b32_e32 v3, 15, v40
	v_add_nc_u32_e32 v46, 0x3c10, v1
	v_add_nc_u32_e32 v47, 0x3c0c, v1
	v_cmp_eq_u32_e64 s10, 7, v2
	v_and_b32_e32 v2, 31, v40
	v_cmp_eq_u32_e64 s11, 15, v3
	v_and_b32_e32 v3, 63, v40
	v_add_nc_u32_e32 v52, 0x39fc, v1
	v_add_nc_u32_e32 v53, 0x3c08, v1
	v_cmp_eq_u32_e64 s12, 31, v2
	v_and_b32_e32 v2, 0x7f, v40
	v_add_nc_u32_e32 v54, 0x39f8, v1
	v_add_nc_u32_e32 v55, 0x3c00, v1
	;; [unrolled: 1-line block ×7, first 2 shown]
	v_cmp_eq_u32_e64 s13, 63, v3
	v_add_nc_u32_e32 v61, 0x3b90, v1
	v_add_nc_u32_e32 v62, 0x3980, v1
	v_cmp_eq_u32_e64 s14, 0x7f, v2
	v_add_nc_u32_e32 v63, 0x3b10, v1
	v_add_nc_u32_e32 v64, 0x3900, v1
	v_not_b32_e32 v66, v40
	v_add_nc_u32_e64 v67, 0x3c00, 0
	v_add_nc_u32_e64 v68, 0x3800, 0
	s_lshl_b64 s[2:3], s[20:21], 2
	s_mov_b32 s21, s20
	s_add_nc_u64 s[22:23], s[16:17], s[2:3]
	s_add_nc_u64 s[8:9], s[0:1], 24
	s_get_pc_i64 s[18:19]
	s_add_nc_u64 s[18:19], s[18:19], _Z14sort_thresholdIfEvPT_S1_jjS1_j@rel64+4
	s_branch .LBB5_39
.LBB5_38:                               ;   in Loop: Header=BB5_39 Depth=1
	ds_load_b32 v0, v45 offset:15364
	s_wait_dscnt 0x0
	v_cmp_lt_i32_e32 vcc_lo, -1, v0
	s_cbranch_vccz .LBB5_114
.LBB5_39:                               ; =>This Loop Header: Depth=1
                                        ;     Child Loop BB5_47 Depth 2
                                        ;     Child Loop BB5_52 Depth 2
                                        ;     Child Loop BB5_88 Depth 2
                                        ;     Child Loop BB5_96 Depth 2
                                        ;     Child Loop BB5_101 Depth 2
	v_mul_lo_u32 v0, v0, 12
	s_delay_alu instid0(VALU_DEP_1)
	v_add_nc_u32_e32 v1, 0x3e20, v0
	ds_load_2addr_b32 v[42:43], v1 offset1:1
	ds_load_b32 v69, v0 offset:15912
	s_wait_dscnt 0x0
	s_barrier_signal -1
	s_barrier_wait -1
	s_and_saveexec_b32 s0, s5
	s_cbranch_execz .LBB5_41
; %bb.40:                               ;   in Loop: Header=BB5_39 Depth=1
	ds_load_b32 v0, v45 offset:15364
	s_wait_dscnt 0x0
	v_add_nc_u32_e32 v0, -1, v0
	ds_store_2addr_b32 v67, v0, v45 offset0:1 offset1:133
	ds_store_b32 v45, v45 offset:15976
.LBB5_41:                               ;   in Loop: Header=BB5_39 Depth=1
	s_or_b32 exec_lo, exec_lo, s0
	v_cmp_eq_u32_e32 vcc_lo, 1, v69
	v_dual_mov_b32 v1, s15 :: v_dual_mov_b32 v3, s15
	v_cndmask_b32_e64 v0, 0x1b00, 0, vcc_lo
	v_cndmask_b32_e64 v2, 0, 0x1b00, vcc_lo
	v_cmp_ge_u32_e32 vcc_lo, v42, v43
	ds_store_b32 v41, v45
	ds_store_b32 v46, v45
	ds_store_2addr_b64 v68, v[0:1], v[2:3] offset0:129 offset1:195
	s_wait_dscnt 0x0
	s_barrier_signal -1
	s_barrier_wait -1
	ds_load_b64 v[0:1], v45 offset:15368
	s_and_b32 vcc_lo, exec_lo, vcc_lo
	s_wait_dscnt 0x0
	v_readfirstlane_b32 s0, v0
	v_readfirstlane_b32 s1, v1
	flat_load_b32 v2, v42, s[0:1] scale_offset
	s_wait_loadcnt_dscnt 0x0
	v_cvt_u32_f32_e32 v4, v2
	s_cbranch_vccnz .LBB5_43
; %bb.42:                               ;   in Loop: Header=BB5_39 Depth=1
	v_dual_add_nc_u32 v2, v43, v42 :: v_dual_add_nc_u32 v3, -1, v43
	s_wait_xcnt 0x0
	v_readfirstlane_b32 s0, v0
	v_readfirstlane_b32 s1, v1
	s_delay_alu instid0(VALU_DEP_3)
	v_lshrrev_b32_e32 v2, 1, v2
	s_clause 0x1
	flat_load_b32 v5, v2, s[0:1] scale_offset
	flat_load_b32 v6, v3, s[0:1] scale_offset
	s_wait_loadcnt_dscnt 0x101
	s_wait_xcnt 0x1
	v_cvt_u32_f32_e32 v2, v5
	s_wait_loadcnt_dscnt 0x0
	s_wait_xcnt 0x0
	v_cvt_u32_f32_e32 v3, v6
	s_delay_alu instid0(VALU_DEP_2) | instskip(NEXT) | instid1(VALU_DEP_2)
	v_max_u32_e32 v5, v4, v2
	v_minmax_u32 v2, v4, v2, v3
	s_delay_alu instid0(VALU_DEP_2) | instskip(NEXT) | instid1(VALU_DEP_2)
	v_cmp_lt_u32_e32 vcc_lo, v5, v3
	v_cndmask_b32_e32 v4, v2, v5, vcc_lo
.LBB5_43:                               ;   in Loop: Header=BB5_39 Depth=1
	v_dual_add_nc_u32 v6, v42, v40 :: v_dual_mov_b32 v2, 0
	v_mov_b32_e32 v3, 0
	s_delay_alu instid0(VALU_DEP_2)
	v_cmp_lt_u32_e32 vcc_lo, v6, v43
	s_wait_xcnt 0x0
	s_and_saveexec_b32 s2, vcc_lo
	s_cbranch_execz .LBB5_55
; %bb.44:                               ;   in Loop: Header=BB5_39 Depth=1
	v_add_max_u32_e64 v8, v65, v42, v43
	v_mov_b32_e32 v5, v6
	s_mov_b32 s4, exec_lo
	s_delay_alu instid0(VALU_DEP_2) | instskip(NEXT) | instid1(VALU_DEP_1)
	v_dual_mov_b32 v3, 0 :: v_dual_add_nc_u32 v2, v8, v66
	v_dual_mov_b32 v2, 0 :: v_dual_sub_nc_u32 v7, v2, v42
	s_delay_alu instid0(VALU_DEP_1)
	v_cmp_gt_u32_e64 s3, 0x880, v7
	v_cmpx_lt_u32_e32 0x87f, v7
	s_cbranch_execz .LBB5_50
; %bb.45:                               ;   in Loop: Header=BB5_39 Depth=1
	v_dual_mov_b32 v3, 0 :: v_dual_sub_nc_u32 v2, v40, v8
	s_mov_b32 s1, -1
	s_delay_alu instid0(VALU_DEP_1) | instskip(NEXT) | instid1(VALU_DEP_1)
	v_add_nc_u32_e32 v2, v2, v42
	v_or_b32_e32 v5, 0x7f, v2
	v_mov_b32_e32 v2, 0
	s_delay_alu instid0(VALU_DEP_2)
	v_cmp_ge_u32_e64 s0, v5, v6
	v_mov_b32_e32 v5, v6
	s_and_saveexec_b32 s24, s0
	s_cbranch_execz .LBB5_49
; %bb.46:                               ;   in Loop: Header=BB5_39 Depth=1
	v_dual_mov_b32 v3, v4 :: v_dual_lshrrev_b32 v2, 7, v7
	v_dual_mov_b32 v12, 0 :: v_dual_add_nc_u32 v7, 0x80, v6
	v_dual_mov_b32 v13, 0 :: v_dual_mov_b32 v14, 0
	s_delay_alu instid0(VALU_DEP_3) | instskip(NEXT) | instid1(VALU_DEP_3)
	v_dual_mov_b32 v11, 0 :: v_dual_add_nc_u32 v2, 1, v2
	v_mov_b64_e32 v[8:9], v[6:7]
	s_mov_b32 s25, 0
	s_delay_alu instid0(VALU_DEP_2) | instskip(NEXT) | instid1(VALU_DEP_1)
	v_and_b32_e32 v10, 0x3fffffe, v2
	v_mov_b32_e32 v5, v10
.LBB5_47:                               ;   Parent Loop BB5_39 Depth=1
                                        ; =>  This Inner Loop Header: Depth=2
	s_delay_alu instid0(VALU_DEP_1) | instskip(SKIP_1) | instid1(VALU_DEP_2)
	v_dual_mov_b32 v44, v8 :: v_dual_add_nc_u32 v5, -2, v5
	v_add_nc_u32_e32 v8, 0x100, v8
	v_lshl_add_u64 v[16:17], v[44:45], 2, v[0:1]
	v_dual_mov_b32 v44, v9 :: v_dual_add_nc_u32 v9, 0x100, v9
	s_delay_alu instid0(VALU_DEP_4) | instskip(NEXT) | instid1(VALU_DEP_2)
	v_cmp_eq_u32_e64 s0, 0, v5
	v_lshl_add_u64 v[18:19], v[44:45], 2, v[0:1]
	s_clause 0x1
	flat_load_b32 v7, v[16:17]
	flat_load_b32 v15, v[18:19]
	s_or_b32 s25, s0, s25
	s_wait_loadcnt_dscnt 0x101
	v_cvt_u32_f32_e32 v7, v7
	s_wait_loadcnt_dscnt 0x0
	v_cvt_u32_f32_e32 v15, v15
	s_delay_alu instid0(VALU_DEP_2) | instskip(NEXT) | instid1(VALU_DEP_1)
	v_cmp_gt_u32_e64 s1, v4, v7
	v_add_co_ci_u32_e64 v11, null, 0, v11, s1
	v_cmp_lt_u32_e64 s1, v4, v7
	s_delay_alu instid0(VALU_DEP_1) | instskip(SKIP_1) | instid1(VALU_DEP_1)
	v_add_co_ci_u32_e64 v13, null, 0, v13, s1
	v_cmp_gt_u32_e64 s1, v3, v15
	v_add_co_ci_u32_e64 v12, null, 0, v12, s1
	v_cmp_lt_u32_e64 s1, v3, v15
	s_delay_alu instid0(VALU_DEP_1)
	v_add_co_ci_u32_e64 v14, null, 0, v14, s1
	s_wait_xcnt 0x0
	s_and_not1_b32 exec_lo, exec_lo, s25
	s_cbranch_execnz .LBB5_47
; %bb.48:                               ;   in Loop: Header=BB5_39 Depth=1
	s_or_b32 exec_lo, exec_lo, s25
	v_cmp_ne_u32_e64 s0, v2, v10
	v_lshl_add_u32 v5, v10, 7, v6
	v_dual_add_nc_u32 v3, v11, v12 :: v_dual_add_nc_u32 v2, v13, v14
	s_or_not1_b32 s1, s0, exec_lo
.LBB5_49:                               ;   in Loop: Header=BB5_39 Depth=1
	s_or_b32 exec_lo, exec_lo, s24
	s_delay_alu instid0(SALU_CYCLE_1) | instskip(SKIP_1) | instid1(SALU_CYCLE_1)
	s_and_not1_b32 s0, s3, exec_lo
	s_and_b32 s1, s1, exec_lo
	s_or_b32 s3, s0, s1
.LBB5_50:                               ;   in Loop: Header=BB5_39 Depth=1
	s_or_b32 exec_lo, exec_lo, s4
	s_and_saveexec_b32 s4, s3
	s_cbranch_execz .LBB5_54
; %bb.51:                               ;   in Loop: Header=BB5_39 Depth=1
	s_mov_b32 s3, 0
.LBB5_52:                               ;   Parent Loop BB5_39 Depth=1
                                        ; =>  This Inner Loop Header: Depth=2
	v_readfirstlane_b32 s0, v0
	v_readfirstlane_b32 s1, v1
	flat_load_b32 v7, v5, s[0:1] scale_offset
	s_wait_xcnt 0x0
	v_add_nc_u32_e32 v5, 0x80, v5
	s_delay_alu instid0(VALU_DEP_1) | instskip(SKIP_3) | instid1(VALU_DEP_1)
	v_cmp_ge_u32_e64 s0, v5, v43
	s_or_b32 s3, s0, s3
	s_wait_loadcnt_dscnt 0x0
	v_cvt_u32_f32_e32 v7, v7
	v_cmp_gt_u32_e64 s1, v4, v7
	s_delay_alu instid0(VALU_DEP_1) | instskip(SKIP_1) | instid1(VALU_DEP_1)
	v_add_co_ci_u32_e64 v3, null, 0, v3, s1
	v_cmp_lt_u32_e64 s1, v4, v7
	v_add_co_ci_u32_e64 v2, null, 0, v2, s1
	s_and_not1_b32 exec_lo, exec_lo, s3
	s_cbranch_execnz .LBB5_52
; %bb.53:                               ;   in Loop: Header=BB5_39 Depth=1
	s_or_b32 exec_lo, exec_lo, s3
.LBB5_54:                               ;   in Loop: Header=BB5_39 Depth=1
	s_delay_alu instid0(SALU_CYCLE_1)
	s_or_b32 exec_lo, exec_lo, s4
.LBB5_55:                               ;   in Loop: Header=BB5_39 Depth=1
	s_delay_alu instid0(SALU_CYCLE_1)
	s_or_b32 exec_lo, exec_lo, s2
	ds_store_b32 v46, v3
	ds_store_b32 v41, v2
	s_wait_dscnt 0x0
	s_barrier_signal -1
	s_barrier_wait -1
	s_and_saveexec_b32 s0, s6
	s_cbranch_execz .LBB5_57
; %bb.56:                               ;   in Loop: Header=BB5_39 Depth=1
	ds_load_2addr_b32 v[0:1], v47 offset1:1
	ds_load_2addr_b32 v[2:3], v52 offset1:1
	s_wait_dscnt 0x0
	v_dual_add_nc_u32 v0, v1, v0 :: v_dual_add_nc_u32 v1, v3, v2
	ds_store_b32 v46, v0
	ds_store_b32 v41, v1
.LBB5_57:                               ;   in Loop: Header=BB5_39 Depth=1
	s_or_b32 exec_lo, exec_lo, s0
	s_wait_dscnt 0x0
	s_barrier_signal -1
	s_barrier_wait -1
	s_and_saveexec_b32 s0, s7
	s_cbranch_execz .LBB5_59
; %bb.58:                               ;   in Loop: Header=BB5_39 Depth=1
	ds_load_b32 v0, v53
	ds_load_b32 v1, v54
	ds_load_b32 v2, v46
	ds_load_b32 v3, v41
	s_wait_dscnt 0x0
	v_dual_add_nc_u32 v0, v2, v0 :: v_dual_add_nc_u32 v1, v3, v1
	ds_store_b32 v46, v0
	ds_store_b32 v41, v1
.LBB5_59:                               ;   in Loop: Header=BB5_39 Depth=1
	s_or_b32 exec_lo, exec_lo, s0
	s_wait_dscnt 0x0
	s_barrier_signal -1
	s_barrier_wait -1
	s_and_saveexec_b32 s0, s10
	s_cbranch_execz .LBB5_61
; %bb.60:                               ;   in Loop: Header=BB5_39 Depth=1
	ds_load_b32 v0, v55
	ds_load_b32 v1, v56
	ds_load_b32 v2, v46
	ds_load_b32 v3, v41
	s_wait_dscnt 0x0
	v_dual_add_nc_u32 v0, v2, v0 :: v_dual_add_nc_u32 v1, v3, v1
	ds_store_b32 v46, v0
	ds_store_b32 v41, v1
.LBB5_61:                               ;   in Loop: Header=BB5_39 Depth=1
	;; [unrolled: 16-line block ×6, first 2 shown]
	s_or_b32 exec_lo, exec_lo, s0
	s_wait_dscnt 0x0
	s_barrier_signal -1
	s_barrier_wait -1
	s_and_saveexec_b32 s0, s14
	s_cbranch_execz .LBB5_71
; %bb.70:                               ;   in Loop: Header=BB5_39 Depth=1
	ds_load_b32 v0, v46
	ds_load_b32 v1, v41
	s_wait_dscnt 0x0
	ds_store_b64 v45, v[0:1] offset:15888
	ds_store_b32 v45, v1 offset:15360
	ds_store_b32 v45, v0 offset:15976
	ds_store_b32 v46, v45
	ds_store_b32 v41, v45
.LBB5_71:                               ;   in Loop: Header=BB5_39 Depth=1
	s_or_b32 exec_lo, exec_lo, s0
	s_and_saveexec_b32 s0, s14
	s_cbranch_execz .LBB5_73
; %bb.72:                               ;   in Loop: Header=BB5_39 Depth=1
	ds_load_b32 v0, v63
	ds_load_b32 v1, v64
	ds_load_b32 v2, v46
	ds_load_b32 v3, v41
	s_wait_dscnt 0x0
	v_dual_add_nc_u32 v0, v2, v0 :: v_dual_add_nc_u32 v1, v3, v1
	ds_store_b32 v63, v2
	ds_store_b32 v64, v3
	ds_store_b32 v46, v0
	ds_store_b32 v41, v1
.LBB5_73:                               ;   in Loop: Header=BB5_39 Depth=1
	s_or_b32 exec_lo, exec_lo, s0
	s_wait_dscnt 0x0
	s_barrier_signal -1
	s_barrier_wait -1
	s_and_saveexec_b32 s0, s13
	s_cbranch_execz .LBB5_75
; %bb.74:                               ;   in Loop: Header=BB5_39 Depth=1
	ds_load_b32 v0, v61
	ds_load_b32 v1, v62
	ds_load_b32 v2, v46
	ds_load_b32 v3, v41
	s_wait_dscnt 0x0
	v_dual_add_nc_u32 v0, v2, v0 :: v_dual_add_nc_u32 v1, v3, v1
	ds_store_b32 v61, v2
	ds_store_b32 v62, v3
	ds_store_b32 v46, v0
	ds_store_b32 v41, v1
.LBB5_75:                               ;   in Loop: Header=BB5_39 Depth=1
	s_or_b32 exec_lo, exec_lo, s0
	s_wait_dscnt 0x0
	s_barrier_signal -1
	s_barrier_wait -1
	;; [unrolled: 18-line block ×6, first 2 shown]
	s_and_saveexec_b32 s0, s6
	s_cbranch_execz .LBB5_85
; %bb.84:                               ;   in Loop: Header=BB5_39 Depth=1
	ds_load_2addr_b32 v[0:1], v47 offset1:1
	ds_load_2addr_b32 v[2:3], v52 offset1:1
	s_wait_dscnt 0x0
	v_dual_add_nc_u32 v0, v1, v0 :: v_dual_add_nc_u32 v2, v3, v2
	ds_store_2addr_b32 v47, v1, v0 offset1:1
	ds_store_2addr_b32 v52, v3, v2 offset1:1
.LBB5_85:                               ;   in Loop: Header=BB5_39 Depth=1
	s_or_b32 exec_lo, exec_lo, s0
	s_wait_dscnt 0x0
	s_barrier_signal -1
	s_barrier_wait -1
	s_and_saveexec_b32 s0, vcc_lo
	s_cbranch_execz .LBB5_92
; %bb.86:                               ;   in Loop: Header=BB5_39 Depth=1
	ds_load_b32 v5, v41 offset:4
	ds_load_b32 v7, v46
	ds_load_2addr_b64 v[0:3], v68 offset0:129 offset1:195
	s_mov_b32 s1, 0
	s_wait_dscnt 0x2
	v_dual_mov_b32 v8, v6 :: v_dual_sub_nc_u32 v5, v43, v5
	s_wait_dscnt 0x1
	v_add_nc_u32_e32 v7, v7, v42
	s_branch .LBB5_88
.LBB5_87:                               ;   in Loop: Header=BB5_88 Depth=2
	s_or_b32 exec_lo, exec_lo, s2
	v_add_nc_u32_e32 v8, 0x80, v8
	s_delay_alu instid0(VALU_DEP_1) | instskip(SKIP_1) | instid1(SALU_CYCLE_1)
	v_cmp_ge_u32_e32 vcc_lo, v8, v43
	s_or_b32 s1, vcc_lo, s1
	s_and_not1_b32 exec_lo, exec_lo, s1
	s_cbranch_execz .LBB5_92
.LBB5_88:                               ;   Parent Loop BB5_39 Depth=1
                                        ; =>  This Inner Loop Header: Depth=2
	s_wait_dscnt 0x0
	v_readfirstlane_b32 s2, v0
	v_readfirstlane_b32 s3, v1
	flat_load_b32 v9, v8, s[2:3] scale_offset
	s_wait_xcnt 0x0
	s_mov_b32 s2, exec_lo
	s_wait_loadcnt_dscnt 0x0
	v_cvt_u32_f32_e32 v10, v9
	s_delay_alu instid0(VALU_DEP_1)
	v_cvt_f32_u32_e32 v9, v10
	v_cmpx_gt_u32_e64 v4, v10
	s_cbranch_execz .LBB5_90
; %bb.89:                               ;   in Loop: Header=BB5_88 Depth=2
	v_readfirstlane_b32 s24, v2
	v_readfirstlane_b32 s25, v3
	v_add_nc_u32_e32 v11, 1, v7
	flat_store_b32 v7, v9, s[24:25] scale_offset
	s_wait_xcnt 0x0
	v_mov_b32_e32 v7, v11
.LBB5_90:                               ;   in Loop: Header=BB5_88 Depth=2
	s_or_b32 exec_lo, exec_lo, s2
	s_delay_alu instid0(SALU_CYCLE_1)
	s_mov_b32 s2, exec_lo
	v_cmpx_lt_u32_e64 v4, v10
	s_cbranch_execz .LBB5_87
; %bb.91:                               ;   in Loop: Header=BB5_88 Depth=2
	v_readfirstlane_b32 s24, v2
	v_readfirstlane_b32 s25, v3
	v_add_nc_u32_e32 v10, 1, v5
	flat_store_b32 v5, v9, s[24:25] scale_offset
	s_wait_xcnt 0x0
	v_mov_b32_e32 v5, v10
	s_branch .LBB5_87
.LBB5_92:                               ;   in Loop: Header=BB5_39 Depth=1
	s_or_b32 exec_lo, exec_lo, s0
	s_wait_storecnt_dscnt 0x0
	s_barrier_signal -1
	s_barrier_wait -1
	ds_load_2addr_b32 v[2:3], v67 offset0:133 offset1:154
	s_mov_b32 s0, exec_lo
	s_wait_dscnt 0x0
	v_dual_add_nc_u32 v0, v6, v3 :: v_dual_sub_nc_u32 v5, v43, v2
	s_delay_alu instid0(VALU_DEP_1)
	v_cmpx_lt_u32_e64 v0, v5
	s_cbranch_execz .LBB5_102
; %bb.93:                               ;   in Loop: Header=BB5_39 Depth=1
	v_add_nc_u32_e32 v2, v42, v3
	v_cvt_f32_u32_e32 v4, v4
	s_mov_b32 s2, exec_lo
	s_delay_alu instid0(VALU_DEP_2) | instskip(NEXT) | instid1(VALU_DEP_1)
	v_add_max_u32_e64 v3, v2, v65, v5
	v_add_nc_u32_e32 v1, v3, v66
	s_delay_alu instid0(VALU_DEP_1) | instskip(NEXT) | instid1(VALU_DEP_1)
	v_sub_nc_u32_e32 v1, v1, v2
	v_cmp_gt_u32_e64 s1, 0xf80, v1
	v_cmpx_lt_u32_e32 0xf7f, v1
	s_cbranch_execz .LBB5_99
; %bb.94:                               ;   in Loop: Header=BB5_39 Depth=1
	v_sub_nc_u32_e32 v3, v40, v3
	s_mov_b32 s4, -1
	s_mov_b32 s3, exec_lo
	s_delay_alu instid0(VALU_DEP_1) | instskip(NEXT) | instid1(VALU_DEP_1)
	v_dual_add_nc_u32 v2, v3, v2 :: v_dual_add_nc_u32 v3, s20, v0
	v_or_b32_e32 v2, 0x7f, v2
	s_delay_alu instid0(VALU_DEP_1)
	v_cmpx_ge_u32_e64 v2, v3
	s_cbranch_execz .LBB5_98
; %bb.95:                               ;   in Loop: Header=BB5_39 Depth=1
	v_lshrrev_b32_e32 v1, 7, v1
	s_mov_b32 s4, 0
	s_delay_alu instid0(VALU_DEP_1) | instskip(SKIP_1) | instid1(VALU_DEP_2)
	v_add_nc_u32_e32 v6, 1, v1
	v_add_nc_u32_e32 v1, 0x80, v0
	v_and_b32_e32 v7, 0x3fffffe, v6
	s_delay_alu instid0(VALU_DEP_2) | instskip(NEXT) | instid1(VALU_DEP_2)
	v_mov_b64_e32 v[2:3], v[0:1]
	v_mov_b32_e32 v8, v7
.LBB5_96:                               ;   Parent Loop BB5_39 Depth=1
                                        ; =>  This Inner Loop Header: Depth=2
	s_delay_alu instid0(VALU_DEP_1) | instskip(NEXT) | instid1(VALU_DEP_3)
	v_dual_add_nc_u32 v10, s21, v3 :: v_dual_add_nc_u32 v8, -2, v8
	v_dual_mov_b32 v11, v45 :: v_dual_add_nc_u32 v44, s20, v2
	v_add_nc_u32_e32 v3, 0x100, v3
	v_add_nc_u32_e32 v2, 0x100, v2
	s_delay_alu instid0(VALU_DEP_4) | instskip(NEXT) | instid1(VALU_DEP_4)
	v_cmp_eq_u32_e32 vcc_lo, 0, v8
	v_lshl_add_u64 v[12:13], v[44:45], 2, s[16:17]
	v_lshl_add_u64 v[10:11], v[10:11], 2, s[16:17]
	s_clause 0x1
	global_store_b32 v[12:13], v4, off
	global_store_b32 v[10:11], v4, off
	s_or_b32 s4, vcc_lo, s4
	s_wait_xcnt 0x0
	s_and_not1_b32 exec_lo, exec_lo, s4
	s_cbranch_execnz .LBB5_96
; %bb.97:                               ;   in Loop: Header=BB5_39 Depth=1
	s_or_b32 exec_lo, exec_lo, s4
	v_cmp_ne_u32_e32 vcc_lo, v6, v7
	v_lshl_add_u32 v0, v7, 7, v0
	s_or_not1_b32 s4, vcc_lo, exec_lo
.LBB5_98:                               ;   in Loop: Header=BB5_39 Depth=1
	s_or_b32 exec_lo, exec_lo, s3
	s_delay_alu instid0(SALU_CYCLE_1) | instskip(SKIP_1) | instid1(SALU_CYCLE_1)
	s_and_not1_b32 s1, s1, exec_lo
	s_and_b32 s3, s4, exec_lo
	s_or_b32 s1, s1, s3
.LBB5_99:                               ;   in Loop: Header=BB5_39 Depth=1
	s_or_b32 exec_lo, exec_lo, s2
	s_delay_alu instid0(SALU_CYCLE_1)
	s_and_b32 exec_lo, exec_lo, s1
	s_cbranch_execz .LBB5_102
; %bb.100:                              ;   in Loop: Header=BB5_39 Depth=1
	s_mov_b32 s1, 0
.LBB5_101:                              ;   Parent Loop BB5_39 Depth=1
                                        ; =>  This Inner Loop Header: Depth=2
	v_add_nc_u32_e32 v1, s20, v0
	v_add_nc_u32_e32 v0, 0x80, v0
	global_store_b32 v1, v4, s[16:17] scale_offset
	v_cmp_ge_u32_e32 vcc_lo, v0, v5
	s_or_b32 s1, vcc_lo, s1
	s_wait_xcnt 0x0
	s_and_not1_b32 exec_lo, exec_lo, s1
	s_cbranch_execnz .LBB5_101
.LBB5_102:                              ;   in Loop: Header=BB5_39 Depth=1
	s_or_b32 exec_lo, exec_lo, s0
	s_wait_storecnt 0x0
	s_barrier_signal -1
	s_barrier_wait -1
	ds_load_b32 v2, v45 offset:15976
	s_mov_b32 s0, -1
	s_wait_dscnt 0x0
	v_cmp_lt_u32_e32 vcc_lo, 0x100, v2
	s_cbranch_vccz .LBB5_106
; %bb.103:                              ;   in Loop: Header=BB5_39 Depth=1
	s_and_saveexec_b32 s0, s5
	s_cbranch_execz .LBB5_105
; %bb.104:                              ;   in Loop: Header=BB5_39 Depth=1
	ds_load_b32 v0, v45 offset:15364
	v_dual_add_nc_u32 v3, v2, v42 :: v_dual_bitop2_b32 v5, 1, v69 bitop3:0x14
	s_wait_dscnt 0x0
	v_mul_lo_u32 v1, v0, 12
	v_add_nc_u32_e32 v0, 1, v0
	s_delay_alu instid0(VALU_DEP_2)
	v_add_nc_u32_e32 v4, 0x3e2c, v1
	ds_store_b32 v45, v0 offset:15364
	ds_store_2addr_b32 v4, v42, v3 offset1:1
	ds_store_b32 v1, v5 offset:15924
.LBB5_105:                              ;   in Loop: Header=BB5_39 Depth=1
	s_or_b32 exec_lo, exec_lo, s0
	s_mov_b32 s0, 0
	s_wait_dscnt 0x0
	s_barrier_signal -1
	s_barrier_wait -1
.LBB5_106:                              ;   in Loop: Header=BB5_39 Depth=1
	s_and_b32 vcc_lo, exec_lo, s0
	s_cbranch_vccz .LBB5_108
; %bb.107:                              ;   in Loop: Header=BB5_39 Depth=1
	ds_load_b64 v[0:1], v45 offset:15896
	v_dual_mov_b32 v2, s22 :: v_dual_add_nc_u32 v5, v2, v42
	v_dual_mov_b32 v3, s23 :: v_dual_mov_b32 v4, v42
	v_mov_b32_e32 v6, v40
	s_swap_pc_i64 s[30:31], s[18:19]
.LBB5_108:                              ;   in Loop: Header=BB5_39 Depth=1
	ds_load_b32 v2, v45 offset:15892
	s_mov_b32 s0, -1
	s_wait_dscnt 0x0
	v_cmp_lt_u32_e32 vcc_lo, 0x100, v2
	s_cbranch_vccnz .LBB5_110
; %bb.109:                              ;   in Loop: Header=BB5_39 Depth=1
	s_and_b32 vcc_lo, exec_lo, s0
	s_cbranch_vccz .LBB5_38
	s_branch .LBB5_113
.LBB5_110:                              ;   in Loop: Header=BB5_39 Depth=1
	s_and_saveexec_b32 s0, s5
	s_cbranch_execz .LBB5_112
; %bb.111:                              ;   in Loop: Header=BB5_39 Depth=1
	ds_load_b32 v0, v45 offset:15364
	v_dual_sub_nc_u32 v3, v43, v2 :: v_dual_bitop2_b32 v5, 1, v69 bitop3:0x14
	s_wait_dscnt 0x0
	v_mul_lo_u32 v1, v0, 12
	v_add_nc_u32_e32 v0, 1, v0
	s_delay_alu instid0(VALU_DEP_2)
	v_add_nc_u32_e32 v4, 0x3e2c, v1
	ds_store_b32 v45, v0 offset:15364
	ds_store_2addr_b32 v4, v3, v43 offset1:1
	ds_store_b32 v1, v5 offset:15924
.LBB5_112:                              ;   in Loop: Header=BB5_39 Depth=1
	s_or_b32 exec_lo, exec_lo, s0
	s_wait_storecnt_dscnt 0x0
	s_barrier_signal -1
	s_barrier_wait -1
	s_branch .LBB5_38
.LBB5_113:                              ;   in Loop: Header=BB5_39 Depth=1
	ds_load_b64 v[0:1], v45 offset:15896
	v_dual_sub_nc_u32 v4, v43, v2 :: v_dual_mov_b32 v2, s22
	v_dual_mov_b32 v3, s23 :: v_dual_mov_b32 v5, v43
	v_mov_b32_e32 v6, v40
	s_swap_pc_i64 s[30:31], s[18:19]
	s_branch .LBB5_38
.LBB5_114:
	s_endpgm
	.section	.rodata,"a",@progbits
	.p2align	6, 0x0
	.amdhsa_kernel _Z13lqsort_kernelIfEvPT_S1_P11work_recordIS0_E
		.amdhsa_group_segment_fixed_size 15984
		.amdhsa_private_segment_fixed_size 0
		.amdhsa_kernarg_size 280
		.amdhsa_user_sgpr_count 2
		.amdhsa_user_sgpr_dispatch_ptr 0
		.amdhsa_user_sgpr_queue_ptr 0
		.amdhsa_user_sgpr_kernarg_segment_ptr 1
		.amdhsa_user_sgpr_dispatch_id 0
		.amdhsa_user_sgpr_kernarg_preload_length 0
		.amdhsa_user_sgpr_kernarg_preload_offset 0
		.amdhsa_user_sgpr_private_segment_size 0
		.amdhsa_wavefront_size32 1
		.amdhsa_uses_dynamic_stack 0
		.amdhsa_enable_private_segment 0
		.amdhsa_system_sgpr_workgroup_id_x 1
		.amdhsa_system_sgpr_workgroup_id_y 0
		.amdhsa_system_sgpr_workgroup_id_z 0
		.amdhsa_system_sgpr_workgroup_info 0
		.amdhsa_system_vgpr_workitem_id 0
		.amdhsa_next_free_vgpr 70
		.amdhsa_next_free_sgpr 33
		.amdhsa_named_barrier_count 0
		.amdhsa_reserve_vcc 1
		.amdhsa_float_round_mode_32 0
		.amdhsa_float_round_mode_16_64 0
		.amdhsa_float_denorm_mode_32 3
		.amdhsa_float_denorm_mode_16_64 3
		.amdhsa_fp16_overflow 0
		.amdhsa_memory_ordered 1
		.amdhsa_forward_progress 1
		.amdhsa_inst_pref_size 51
		.amdhsa_round_robin_scheduling 0
		.amdhsa_exception_fp_ieee_invalid_op 0
		.amdhsa_exception_fp_denorm_src 0
		.amdhsa_exception_fp_ieee_div_zero 0
		.amdhsa_exception_fp_ieee_overflow 0
		.amdhsa_exception_fp_ieee_underflow 0
		.amdhsa_exception_fp_ieee_inexact 0
		.amdhsa_exception_int_div_zero 0
	.end_amdhsa_kernel
	.section	.text._Z13lqsort_kernelIfEvPT_S1_P11work_recordIS0_E,"axG",@progbits,_Z13lqsort_kernelIfEvPT_S1_P11work_recordIS0_E,comdat
.Lfunc_end5:
	.size	_Z13lqsort_kernelIfEvPT_S1_P11work_recordIS0_E, .Lfunc_end5-_Z13lqsort_kernelIfEvPT_S1_P11work_recordIS0_E
                                        ; -- End function
	.set _Z13lqsort_kernelIfEvPT_S1_P11work_recordIS0_E.num_vgpr, max(70, .L_Z14sort_thresholdIfEvPT_S1_jjS1_j.num_vgpr)
	.set _Z13lqsort_kernelIfEvPT_S1_P11work_recordIS0_E.num_agpr, max(0, .L_Z14sort_thresholdIfEvPT_S1_jjS1_j.num_agpr)
	.set _Z13lqsort_kernelIfEvPT_S1_P11work_recordIS0_E.numbered_sgpr, max(33, .L_Z14sort_thresholdIfEvPT_S1_jjS1_j.numbered_sgpr)
	.set _Z13lqsort_kernelIfEvPT_S1_P11work_recordIS0_E.num_named_barrier, max(0, .L_Z14sort_thresholdIfEvPT_S1_jjS1_j.num_named_barrier)
	.set _Z13lqsort_kernelIfEvPT_S1_P11work_recordIS0_E.private_seg_size, 0+max(.L_Z14sort_thresholdIfEvPT_S1_jjS1_j.private_seg_size)
	.set _Z13lqsort_kernelIfEvPT_S1_P11work_recordIS0_E.uses_vcc, or(1, .L_Z14sort_thresholdIfEvPT_S1_jjS1_j.uses_vcc)
	.set _Z13lqsort_kernelIfEvPT_S1_P11work_recordIS0_E.uses_flat_scratch, or(1, .L_Z14sort_thresholdIfEvPT_S1_jjS1_j.uses_flat_scratch)
	.set _Z13lqsort_kernelIfEvPT_S1_P11work_recordIS0_E.has_dyn_sized_stack, or(0, .L_Z14sort_thresholdIfEvPT_S1_jjS1_j.has_dyn_sized_stack)
	.set _Z13lqsort_kernelIfEvPT_S1_P11work_recordIS0_E.has_recursion, or(0, .L_Z14sort_thresholdIfEvPT_S1_jjS1_j.has_recursion)
	.set _Z13lqsort_kernelIfEvPT_S1_P11work_recordIS0_E.has_indirect_call, or(0, .L_Z14sort_thresholdIfEvPT_S1_jjS1_j.has_indirect_call)
	.section	.AMDGPU.csdata,"",@progbits
; Kernel info:
; codeLenInByte = 6412
; TotalNumSgprs: 35
; NumVgprs: 70
; ScratchSize: 0
; MemoryBound: 0
; FloatMode: 240
; IeeeMode: 1
; LDSByteSize: 15984 bytes/workgroup (compile time only)
; SGPRBlocks: 0
; VGPRBlocks: 4
; NumSGPRsForWavesPerEU: 35
; NumVGPRsForWavesPerEU: 70
; NamedBarCnt: 0
; Occupancy: 12
; WaveLimiterHint : 1
; COMPUTE_PGM_RSRC2:SCRATCH_EN: 0
; COMPUTE_PGM_RSRC2:USER_SGPR: 2
; COMPUTE_PGM_RSRC2:TRAP_HANDLER: 0
; COMPUTE_PGM_RSRC2:TGID_X_EN: 1
; COMPUTE_PGM_RSRC2:TGID_Y_EN: 0
; COMPUTE_PGM_RSRC2:TGID_Z_EN: 0
; COMPUTE_PGM_RSRC2:TIDIG_COMP_CNT: 0
	.section	.text._Z13gqsort_kernelIdEvPT_S1_P12block_recordIS0_EP13parent_recordP11work_recordIS0_E,"axG",@progbits,_Z13gqsort_kernelIdEvPT_S1_P12block_recordIS0_EP13parent_recordP11work_recordIS0_E,comdat
	.protected	_Z13gqsort_kernelIdEvPT_S1_P12block_recordIS0_EP13parent_recordP11work_recordIS0_E ; -- Begin function _Z13gqsort_kernelIdEvPT_S1_P12block_recordIS0_EP13parent_recordP11work_recordIS0_E
	.globl	_Z13gqsort_kernelIdEvPT_S1_P12block_recordIS0_EP13parent_recordP11work_recordIS0_E
	.p2align	8
	.type	_Z13gqsort_kernelIdEvPT_S1_P12block_recordIS0_EP13parent_recordP11work_recordIS0_E,@function
_Z13gqsort_kernelIdEvPT_S1_P12block_recordIS0_EP13parent_recordP11work_recordIS0_E: ; @_Z13gqsort_kernelIdEvPT_S1_P12block_recordIS0_EP13parent_recordP11work_recordIS0_E
; %bb.0:
	s_load_b256 s[8:15], s[0:1], 0x0
	s_bfe_u32 s2, ttmp6, 0x4000c
	s_and_b32 s3, ttmp6, 15
	s_add_co_i32 s2, s2, 1
	s_getreg_b32 s4, hwreg(HW_REG_IB_STS2, 6, 4)
	s_mul_i32 s2, ttmp9, s2
	s_mov_b32 s21, 0
	s_add_co_i32 s3, s3, s2
	s_cmp_eq_u32 s4, 0
	v_dual_mov_b32 v4, 0 :: v_dual_lshlrev_b32 v1, 2, v0
	s_cselect_b32 s20, ttmp9, s3
	v_mov_b32_e32 v5, 0
	s_mul_u64 s[2:3], s[20:21], 24
	s_wait_kmcnt 0x0
	s_add_nc_u64 s[2:3], s[12:13], s[2:3]
	s_clause 0x1
	s_load_b64 s[22:23], s[2:3], 0x10
	s_load_b128 s[16:19], s[2:3], 0x0
	s_load_b64 s[12:13], s[0:1], 0x20
	ds_store_2addr_b32 v1, v4, v4 offset1:132
	s_wait_dscnt 0x0
	s_barrier_signal -1
	s_barrier_wait -1
	s_wait_kmcnt 0x0
	s_cmp_eq_u32 s22, 1
	v_add_nc_u32_e32 v2, s16, v0
	s_cselect_b32 s16, -1, 0
	s_delay_alu instid0(SALU_CYCLE_1) | instskip(SKIP_1) | instid1(VALU_DEP_1)
	s_and_b32 s0, s16, exec_lo
	s_cselect_b32 s25, s9, s11
	v_cmp_gt_u32_e32 vcc_lo, s17, v2
	s_cselect_b32 s24, s8, s10
	s_and_saveexec_b32 s2, vcc_lo
	s_cbranch_execz .LBB6_4
; %bb.1:
	v_dual_mov_b32 v4, 0 :: v_dual_mov_b32 v5, 0
	v_mov_b32_e32 v3, v2
.LBB6_2:                                ; =>This Inner Loop Header: Depth=1
	global_load_b64 v[6:7], v3, s[24:25] scale_offset
	s_wait_xcnt 0x0
	v_add_nc_u32_e32 v3, 0x80, v3
	s_delay_alu instid0(VALU_DEP_1) | instskip(SKIP_3) | instid1(VALU_DEP_1)
	v_cmp_le_u32_e64 s0, s17, v3
	s_or_b32 s21, s0, s21
	s_wait_loadcnt 0x0
	v_cvt_u32_f64_e32 v6, v[6:7]
	v_cvt_f64_u32_e32 v[6:7], v6
	s_delay_alu instid0(VALU_DEP_1) | instskip(NEXT) | instid1(VALU_DEP_1)
	v_cmp_gt_f64_e64 s1, s[18:19], v[6:7]
	v_add_co_ci_u32_e64 v4, null, 0, v4, s1
	v_cmp_lt_f64_e64 s1, s[18:19], v[6:7]
	s_delay_alu instid0(VALU_DEP_1)
	v_add_co_ci_u32_e64 v5, null, 0, v5, s1
	s_and_not1_b32 exec_lo, exec_lo, s21
	s_cbranch_execnz .LBB6_2
; %bb.3:
	s_or_b32 exec_lo, exec_lo, s21
.LBB6_4:
	s_delay_alu instid0(SALU_CYCLE_1)
	s_or_b32 exec_lo, exec_lo, s2
	v_add_nc_u32_e32 v3, 0x210, v1
	v_and_b32_e32 v6, 1, v0
	ds_store_b32 v3, v4
	ds_store_b32 v1, v5
	v_add_nc_u32_e32 v4, -4, v3
	v_cmp_eq_u32_e64 s0, 1, v6
	v_add_nc_u32_e32 v5, -4, v1
	s_wait_dscnt 0x0
	s_barrier_signal -1
	s_barrier_wait -1
	s_and_saveexec_b32 s1, s0
	s_cbranch_execz .LBB6_6
; %bb.5:
	ds_load_2addr_b32 v[6:7], v4 offset1:1
	ds_load_2addr_b32 v[8:9], v5 offset1:1
	s_wait_dscnt 0x0
	v_dual_add_nc_u32 v6, v7, v6 :: v_dual_add_nc_u32 v7, v9, v8
	ds_store_b32 v3, v6
	ds_store_b32 v1, v7
.LBB6_6:
	s_or_b32 exec_lo, exec_lo, s1
	v_dual_add_nc_u32 v6, -8, v3 :: v_dual_bitop2_b32 v7, 3, v0 bitop3:0x40
	s_wait_dscnt 0x0
	s_barrier_signal -1
	s_barrier_wait -1
	s_delay_alu instid0(VALU_DEP_1)
	v_cmp_eq_u32_e64 s1, 3, v7
	v_add_nc_u32_e32 v7, -8, v1
	s_and_saveexec_b32 s2, s1
	s_cbranch_execz .LBB6_8
; %bb.7:
	ds_load_b32 v8, v6
	ds_load_b32 v9, v7
	;; [unrolled: 1-line block ×4, first 2 shown]
	s_wait_dscnt 0x0
	v_dual_add_nc_u32 v8, v10, v8 :: v_dual_add_nc_u32 v9, v11, v9
	ds_store_b32 v3, v8
	ds_store_b32 v1, v9
.LBB6_8:
	s_or_b32 exec_lo, exec_lo, s2
	v_dual_add_nc_u32 v8, -16, v3 :: v_dual_bitop2_b32 v9, 7, v0 bitop3:0x40
	s_wait_dscnt 0x0
	s_barrier_signal -1
	s_barrier_wait -1
	s_delay_alu instid0(VALU_DEP_1)
	v_cmp_eq_u32_e64 s2, 7, v9
	v_add_nc_u32_e32 v9, -16, v1
	s_and_saveexec_b32 s3, s2
	s_cbranch_execz .LBB6_10
; %bb.9:
	ds_load_b32 v10, v8
	ds_load_b32 v11, v9
	;; [unrolled: 1-line block ×4, first 2 shown]
	s_wait_dscnt 0x0
	v_dual_add_nc_u32 v10, v12, v10 :: v_dual_add_nc_u32 v11, v13, v11
	ds_store_b32 v3, v10
	ds_store_b32 v1, v11
.LBB6_10:
	s_or_b32 exec_lo, exec_lo, s3
	v_and_b32_e32 v11, 15, v0
	v_subrev_nc_u32_e32 v10, 32, v3
	s_wait_dscnt 0x0
	s_barrier_signal -1
	s_barrier_wait -1
	v_cmp_eq_u32_e64 s3, 15, v11
	v_subrev_nc_u32_e32 v11, 32, v1
	s_and_saveexec_b32 s4, s3
	s_cbranch_execz .LBB6_12
; %bb.11:
	ds_load_b32 v12, v10
	ds_load_b32 v13, v11
	;; [unrolled: 1-line block ×4, first 2 shown]
	s_wait_dscnt 0x0
	v_dual_add_nc_u32 v12, v14, v12 :: v_dual_add_nc_u32 v13, v15, v13
	ds_store_b32 v3, v12
	ds_store_b32 v1, v13
.LBB6_12:
	s_or_b32 exec_lo, exec_lo, s4
	v_and_b32_e32 v13, 31, v0
	v_subrev_nc_u32_e32 v12, 64, v3
	s_wait_dscnt 0x0
	s_barrier_signal -1
	s_barrier_wait -1
	v_cmp_eq_u32_e64 s4, 31, v13
	v_subrev_nc_u32_e32 v13, 64, v1
	s_and_saveexec_b32 s5, s4
	s_cbranch_execz .LBB6_14
; %bb.13:
	ds_load_b32 v14, v12
	ds_load_b32 v15, v13
	;; [unrolled: 1-line block ×4, first 2 shown]
	s_wait_dscnt 0x0
	v_dual_add_nc_u32 v14, v16, v14 :: v_dual_add_nc_u32 v15, v17, v15
	ds_store_b32 v3, v14
	ds_store_b32 v1, v15
.LBB6_14:
	s_or_b32 exec_lo, exec_lo, s5
	v_and_b32_e32 v15, 63, v0
	v_add_nc_u32_e32 v14, 0xffffff80, v3
	s_wait_dscnt 0x0
	s_barrier_signal -1
	s_barrier_wait -1
	v_cmp_eq_u32_e64 s5, 63, v15
	v_add_nc_u32_e32 v15, 0xffffff80, v1
	s_and_saveexec_b32 s6, s5
	s_cbranch_execz .LBB6_16
; %bb.15:
	ds_load_b32 v16, v14
	ds_load_b32 v17, v15
	;; [unrolled: 1-line block ×4, first 2 shown]
	s_wait_dscnt 0x0
	v_dual_add_nc_u32 v16, v18, v16 :: v_dual_add_nc_u32 v17, v19, v17
	ds_store_b32 v3, v16
	ds_store_b32 v1, v17
.LBB6_16:
	s_or_b32 exec_lo, exec_lo, s6
	v_and_b32_e32 v17, 0x7f, v0
	v_add_nc_u32_e32 v16, 0xffffff00, v3
	s_wait_dscnt 0x0
	s_barrier_signal -1
	s_barrier_wait -1
	v_cmp_eq_u32_e64 s6, 0x7f, v17
	v_add_nc_u32_e32 v17, 0xffffff00, v1
	s_and_saveexec_b32 s7, s6
	s_cbranch_execz .LBB6_18
; %bb.17:
	ds_load_b32 v18, v16
	ds_load_b32 v19, v17
	;; [unrolled: 1-line block ×4, first 2 shown]
	s_wait_dscnt 0x0
	v_dual_add_nc_u32 v18, v20, v18 :: v_dual_add_nc_u32 v19, v21, v19
	ds_store_b32 v3, v18
	ds_store_b32 v1, v19
.LBB6_18:
	s_or_b32 exec_lo, exec_lo, s7
	s_wait_dscnt 0x0
	s_barrier_signal -1
	s_barrier_wait -1
	s_and_saveexec_b32 s7, s6
	s_cbranch_execz .LBB6_20
; %bb.19:
	ds_load_b32 v18, v3
	ds_load_b32 v20, v1
	s_wait_dscnt 0x1
	v_dual_mov_b32 v21, 0 :: v_dual_mov_b32 v19, v18
	s_wait_dscnt 0x0
	ds_store_2addr_b32 v21, v20, v20 offset0:128 offset1:131
	ds_store_b64 v21, v[18:19] offset:1040
	ds_store_b32 v3, v21
	ds_store_b32 v1, v21
.LBB6_20:
	s_or_b32 exec_lo, exec_lo, s7
	s_and_saveexec_b32 s7, s6
	s_cbranch_execz .LBB6_22
; %bb.21:
	ds_load_b32 v18, v16
	ds_load_b32 v19, v17
	ds_load_b32 v20, v3
	ds_load_b32 v21, v1
	s_wait_dscnt 0x0
	v_dual_add_nc_u32 v18, v20, v18 :: v_dual_add_nc_u32 v19, v21, v19
	ds_store_b32 v16, v20
	ds_store_b32 v17, v21
	ds_store_b32 v3, v18
	ds_store_b32 v1, v19
.LBB6_22:
	s_or_b32 exec_lo, exec_lo, s7
	s_wait_dscnt 0x0
	s_barrier_signal -1
	s_barrier_wait -1
	s_and_saveexec_b32 s6, s5
	s_cbranch_execz .LBB6_24
; %bb.23:
	ds_load_b32 v16, v14
	ds_load_b32 v17, v15
	ds_load_b32 v18, v3
	ds_load_b32 v19, v1
	s_wait_dscnt 0x0
	v_dual_add_nc_u32 v16, v18, v16 :: v_dual_add_nc_u32 v17, v19, v17
	ds_store_b32 v14, v18
	ds_store_b32 v15, v19
	ds_store_b32 v3, v16
	ds_store_b32 v1, v17
.LBB6_24:
	s_or_b32 exec_lo, exec_lo, s6
	s_wait_dscnt 0x0
	s_barrier_signal -1
	s_barrier_wait -1
	;; [unrolled: 18-line block ×6, first 2 shown]
	s_and_saveexec_b32 s1, s0
	s_cbranch_execz .LBB6_34
; %bb.33:
	ds_load_2addr_b32 v[6:7], v4 offset1:1
	ds_load_2addr_b32 v[8:9], v5 offset1:1
	s_wait_dscnt 0x0
	v_dual_add_nc_u32 v6, v7, v6 :: v_dual_add_nc_u32 v8, v9, v8
	ds_store_2addr_b32 v4, v7, v6 offset1:1
	ds_store_2addr_b32 v5, v9, v8 offset1:1
.LBB6_34:
	s_or_b32 exec_lo, exec_lo, s1
	v_cmp_eq_u32_e64 s0, 0, v0
	s_mov_b32 s5, 0
	s_wait_dscnt 0x0
	s_barrier_signal -1
	s_barrier_wait -1
                                        ; implicit-def: $sgpr30_sgpr31
                                        ; implicit-def: $sgpr28_sgpr29
                                        ; implicit-def: $sgpr26_sgpr27
                                        ; implicit-def: $sgpr6_sgpr7
                                        ; implicit-def: $sgpr2_sgpr3
	s_and_saveexec_b32 s21, s0
	s_cbranch_execz .LBB6_40
; %bb.35:
	v_mov_b32_e32 v0, 0
	s_mov_b32 s6, exec_lo
	s_mov_b32 s4, s23
	v_mbcnt_lo_u32_b32 v6, s6, 0
	s_mul_u64 s[2:3], s[4:5], 20
	ds_load_b32 v5, v0 offset:1044
	s_add_nc_u64 s[2:3], s[14:15], s[2:3]
	s_mov_b32 s4, exec_lo
                                        ; implicit-def: $vgpr7
	v_cmpx_eq_u32_e32 0, v6
	s_cbranch_execz .LBB6_37
; %bb.36:
	s_bcnt1_i32_b32 s1, s6
	s_wait_dscnt 0x0
	v_mul_lo_u32 v4, v5, s1
	global_atomic_add_u32 v7, v0, v4, s[2:3] th:TH_ATOMIC_RETURN scope:SCOPE_DEV
.LBB6_37:
	s_wait_xcnt 0x0
	s_or_b32 exec_lo, exec_lo, s4
	ds_load_b32 v4, v0 offset:524
	s_wait_loadcnt 0x0
	v_readfirstlane_b32 s1, v7
	s_mov_b32 s4, exec_lo
	s_add_nc_u64 s[6:7], s[2:3], 4
	s_mov_b32 s5, exec_lo
	s_wait_dscnt 0x1
	v_mad_u32 v7, v5, v6, s1
	v_mbcnt_lo_u32_b32 v5, s4, 0
	ds_store_b32 v0, v7 offset:520
                                        ; implicit-def: $vgpr0
	s_wait_dscnt 0x1
	v_sub_nc_u32_e32 v6, 0, v4
	v_cmpx_eq_u32_e32 0, v5
	s_cbranch_execz .LBB6_39
; %bb.38:
	s_bcnt1_i32_b32 s1, s4
	v_mov_b32_e32 v7, 0
	v_mul_lo_u32 v0, v6, s1
	global_atomic_add_u32 v0, v7, v0, s[6:7] th:TH_ATOMIC_RETURN scope:SCOPE_DEV
.LBB6_39:
	s_wait_xcnt 0x0
	s_or_b32 exec_lo, exec_lo, s5
	s_wait_loadcnt 0x0
	v_readfirstlane_b32 s1, v0
	s_add_nc_u64 s[26:27], s[2:3], 8
	s_add_nc_u64 s[28:29], s[2:3], 12
	;; [unrolled: 1-line block ×3, first 2 shown]
	v_mad_u32 v0, v6, v5, s1
	s_delay_alu instid0(VALU_DEP_1)
	v_dual_sub_nc_u32 v0, v0, v4 :: v_dual_mov_b32 v4, 0
	ds_store_b32 v4, v0 offset:516
.LBB6_40:
	s_or_b32 exec_lo, exec_lo, s21
	s_delay_alu instid0(SALU_CYCLE_1)
	s_and_b32 s1, s16, exec_lo
	s_cselect_b32 s5, s11, s9
	s_cselect_b32 s4, s10, s8
	s_wait_dscnt 0x0
	s_barrier_signal -1
	s_barrier_wait -1
	s_and_saveexec_b32 s1, vcc_lo
	s_cbranch_execz .LBB6_47
; %bb.41:
	v_mov_b32_e32 v0, 0
	s_mov_b32 s10, 0
	ds_load_b32 v4, v1
	ds_load_2addr_b32 v[0:1], v0 offset0:129 offset1:130
	ds_load_b32 v5, v3
	s_wait_dscnt 0x0
	v_dual_add_nc_u32 v3, v4, v0 :: v_dual_add_nc_u32 v4, v5, v1
	s_branch .LBB6_43
.LBB6_42:                               ;   in Loop: Header=BB6_43 Depth=1
	s_or_b32 exec_lo, exec_lo, s11
	v_add_nc_u32_e32 v2, 0x80, v2
	s_delay_alu instid0(VALU_DEP_1) | instskip(SKIP_1) | instid1(SALU_CYCLE_1)
	v_cmp_le_u32_e32 vcc_lo, s17, v2
	s_or_b32 s10, vcc_lo, s10
	s_and_not1_b32 exec_lo, exec_lo, s10
	s_cbranch_execz .LBB6_47
.LBB6_43:                               ; =>This Inner Loop Header: Depth=1
	global_load_b64 v[0:1], v2, s[24:25] scale_offset
	s_mov_b32 s11, exec_lo
	s_wait_loadcnt 0x0
	v_cvt_u32_f64_e32 v0, v[0:1]
	s_delay_alu instid0(VALU_DEP_1) | instskip(SKIP_1) | instid1(VALU_DEP_1)
	v_cvt_f64_u32_e32 v[0:1], v0
	s_wait_xcnt 0x0
	v_cmpx_gt_f64_e32 s[18:19], v[0:1]
	s_cbranch_execz .LBB6_45
; %bb.44:                               ;   in Loop: Header=BB6_43 Depth=1
	v_add_nc_u32_e32 v5, 1, v4
	global_store_b64 v4, v[0:1], s[4:5] scale_offset
	s_wait_xcnt 0x0
	v_mov_b32_e32 v4, v5
.LBB6_45:                               ;   in Loop: Header=BB6_43 Depth=1
	s_or_b32 exec_lo, exec_lo, s11
	s_delay_alu instid0(SALU_CYCLE_1)
	s_mov_b32 s11, exec_lo
	v_cmpx_lt_f64_e32 s[18:19], v[0:1]
	s_cbranch_execz .LBB6_42
; %bb.46:                               ;   in Loop: Header=BB6_43 Depth=1
	v_add_nc_u32_e32 v5, 1, v3
	global_store_b64 v3, v[0:1], s[4:5] scale_offset
	s_wait_xcnt 0x0
	v_mov_b32_e32 v3, v5
	s_branch .LBB6_42
.LBB6_47:
	s_or_b32 exec_lo, exec_lo, s1
	s_wait_storecnt 0x0
	s_barrier_signal -1
	s_barrier_wait -1
	s_and_saveexec_b32 s1, s0
	s_cbranch_execz .LBB6_59
; %bb.48:
	s_mov_b32 s1, exec_lo
	s_mov_b32 s0, exec_lo
	v_mbcnt_lo_u32_b32 v0, s1, 0
                                        ; implicit-def: $vgpr1
	s_delay_alu instid0(VALU_DEP_1)
	v_cmpx_eq_u32_e32 0, v0
	s_cbranch_execz .LBB6_50
; %bb.49:
	s_bcnt1_i32_b32 s1, s1
	s_delay_alu instid0(SALU_CYCLE_1) | instskip(NEXT) | instid1(SALU_CYCLE_1)
	s_sub_co_i32 s1, 0, s1
	v_dual_mov_b32 v1, 0 :: v_dual_mov_b32 v2, s1
	global_atomic_add_u32 v1, v1, v2, s[30:31] th:TH_ATOMIC_RETURN scope:SCOPE_DEV
.LBB6_50:
	s_wait_xcnt 0x0
	s_or_b32 exec_lo, exec_lo, s0
	s_wait_loadcnt 0x0
	v_readfirstlane_b32 s0, v1
	s_delay_alu instid0(VALU_DEP_1) | instskip(NEXT) | instid1(VALU_DEP_1)
	v_sub_nc_u32_e32 v0, s0, v0
	v_cmp_eq_u32_e32 vcc_lo, 0, v0
	s_and_b32 exec_lo, exec_lo, vcc_lo
	s_cbranch_execz .LBB6_59
; %bb.51:
	v_mov_b32_e32 v3, 0
	s_clause 0x3
	global_load_b32 v5, v3, s[2:3]
	global_load_b32 v0, v3, s[6:7]
	;; [unrolled: 1-line block ×4, first 2 shown]
	s_wait_loadcnt 0x2
	v_cmp_ge_u32_e32 vcc_lo, v5, v0
	s_cbranch_vccnz .LBB6_54
; %bb.52:
	v_dual_mov_b32 v2, v5 :: v_dual_mov_b32 v8, v5
	v_mov_b64_e32 v[6:7], s[18:19]
	s_wait_xcnt 0x0
	s_delay_alu instid0(VALU_DEP_2) | instskip(NEXT) | instid1(VALU_DEP_1)
	v_lshlrev_b64_e32 v[2:3], 3, v[2:3]
	v_add_nc_u64_e32 v[2:3], s[8:9], v[2:3]
.LBB6_53:                               ; =>This Inner Loop Header: Depth=1
	v_add_nc_u32_e32 v8, 1, v8
	global_store_b64 v[2:3], v[6:7], off
	s_wait_xcnt 0x0
	v_add_nc_u64_e32 v[2:3], 8, v[2:3]
	v_cmp_lt_u32_e32 vcc_lo, v8, v0
	s_cbranch_vccnz .LBB6_53
.LBB6_54:
	s_wait_loadcnt 0x1
	global_load_b64 v[6:7], v4, s[4:5] scale_offset
	s_wait_loadcnt 0x1
	v_add_nc_u32_e32 v2, -1, v1
	v_cmp_ge_u32_e32 vcc_lo, v4, v5
	global_load_b64 v[2:3], v2, s[4:5] scale_offset
	s_wait_loadcnt 0x1
	v_cvt_u32_f64_e32 v6, v[6:7]
	s_cbranch_vccnz .LBB6_56
; %bb.55:
	v_dual_add_nc_u32 v7, v4, v5 :: v_dual_add_nc_u32 v12, -1, v5
	s_delay_alu instid0(VALU_DEP_1)
	v_lshrrev_b32_e32 v7, 1, v7
	s_clause 0x1
	global_load_b64 v[8:9], v7, s[4:5] scale_offset
	global_load_b64 v[10:11], v12, s[4:5] scale_offset
	s_wait_loadcnt 0x1
	s_wait_xcnt 0x1
	v_cvt_u32_f64_e32 v7, v[8:9]
	s_wait_loadcnt 0x0
	v_cvt_u32_f64_e32 v8, v[10:11]
	s_delay_alu instid0(VALU_DEP_2) | instskip(SKIP_1) | instid1(VALU_DEP_2)
	v_min_u32_e32 v9, v6, v7
	v_max_u32_e32 v6, v6, v7
	v_max_u32_e32 v7, v9, v8
	s_delay_alu instid0(VALU_DEP_2) | instskip(NEXT) | instid1(VALU_DEP_2)
	v_cmp_lt_u32_e32 vcc_lo, v6, v8
	v_cndmask_b32_e32 v6, v7, v6, vcc_lo
.LBB6_56:
	s_wait_loadcnt 0x0
	v_cvt_u32_f64_e32 v2, v[2:3]
	v_cmp_ge_u32_e32 vcc_lo, v0, v1
	s_cbranch_vccnz .LBB6_58
; %bb.57:
	v_add_nc_u32_e32 v3, v1, v0
	s_delay_alu instid0(VALU_DEP_1)
	v_lshrrev_b32_e32 v3, 1, v3
	s_clause 0x1
	global_load_b64 v[8:9], v0, s[4:5] scale_offset
	global_load_b64 v[10:11], v3, s[4:5] scale_offset
	s_wait_loadcnt 0x1
	s_wait_xcnt 0x0
	v_cvt_u32_f64_e32 v3, v[8:9]
	s_wait_loadcnt 0x0
	v_cvt_u32_f64_e32 v7, v[10:11]
	s_delay_alu instid0(VALU_DEP_1) | instskip(SKIP_1) | instid1(VALU_DEP_2)
	v_min_u32_e32 v8, v3, v7
	v_max_u32_e32 v3, v3, v7
	v_max_u32_e32 v7, v8, v2
	s_delay_alu instid0(VALU_DEP_2) | instskip(NEXT) | instid1(VALU_DEP_2)
	v_cmp_lt_u32_e32 vcc_lo, v3, v2
	v_cndmask_b32_e32 v2, v7, v3, vcc_lo
.LBB6_58:
	s_delay_alu instid0(VALU_DEP_3) | instskip(NEXT) | instid1(VALU_DEP_2)
	v_cvt_f64_u32_e32 v[6:7], v6
	v_cvt_f64_u32_e32 v[2:3], v2
	s_lshl_b32 s0, s20, 1
	s_mov_b32 s1, 0
	s_xor_b32 s2, s22, 1
	s_delay_alu instid0(SALU_CYCLE_1) | instskip(SKIP_1) | instid1(SALU_CYCLE_1)
	v_dual_mov_b32 v8, 0 :: v_dual_mov_b32 v9, s2
	s_mul_u64 s[0:1], s[0:1], 24
	s_add_nc_u64 s[0:1], s[12:13], s[0:1]
	s_clause 0x3
	global_store_b128 v8, v[4:7], s[0:1]
	global_store_b32 v8, v9, s[0:1] offset:16
	global_store_b128 v8, v[0:3], s[0:1] offset:24
	global_store_b32 v8, v9, s[0:1] offset:40
.LBB6_59:
	s_endpgm
	.section	.rodata,"a",@progbits
	.p2align	6, 0x0
	.amdhsa_kernel _Z13gqsort_kernelIdEvPT_S1_P12block_recordIS0_EP13parent_recordP11work_recordIS0_E
		.amdhsa_group_segment_fixed_size 1048
		.amdhsa_private_segment_fixed_size 0
		.amdhsa_kernarg_size 40
		.amdhsa_user_sgpr_count 2
		.amdhsa_user_sgpr_dispatch_ptr 0
		.amdhsa_user_sgpr_queue_ptr 0
		.amdhsa_user_sgpr_kernarg_segment_ptr 1
		.amdhsa_user_sgpr_dispatch_id 0
		.amdhsa_user_sgpr_kernarg_preload_length 0
		.amdhsa_user_sgpr_kernarg_preload_offset 0
		.amdhsa_user_sgpr_private_segment_size 0
		.amdhsa_wavefront_size32 1
		.amdhsa_uses_dynamic_stack 0
		.amdhsa_enable_private_segment 0
		.amdhsa_system_sgpr_workgroup_id_x 1
		.amdhsa_system_sgpr_workgroup_id_y 0
		.amdhsa_system_sgpr_workgroup_id_z 0
		.amdhsa_system_sgpr_workgroup_info 0
		.amdhsa_system_vgpr_workitem_id 0
		.amdhsa_next_free_vgpr 22
		.amdhsa_next_free_sgpr 32
		.amdhsa_named_barrier_count 0
		.amdhsa_reserve_vcc 1
		.amdhsa_float_round_mode_32 0
		.amdhsa_float_round_mode_16_64 0
		.amdhsa_float_denorm_mode_32 3
		.amdhsa_float_denorm_mode_16_64 3
		.amdhsa_fp16_overflow 0
		.amdhsa_memory_ordered 1
		.amdhsa_forward_progress 1
		.amdhsa_inst_pref_size 24
		.amdhsa_round_robin_scheduling 0
		.amdhsa_exception_fp_ieee_invalid_op 0
		.amdhsa_exception_fp_denorm_src 0
		.amdhsa_exception_fp_ieee_div_zero 0
		.amdhsa_exception_fp_ieee_overflow 0
		.amdhsa_exception_fp_ieee_underflow 0
		.amdhsa_exception_fp_ieee_inexact 0
		.amdhsa_exception_int_div_zero 0
	.end_amdhsa_kernel
	.section	.text._Z13gqsort_kernelIdEvPT_S1_P12block_recordIS0_EP13parent_recordP11work_recordIS0_E,"axG",@progbits,_Z13gqsort_kernelIdEvPT_S1_P12block_recordIS0_EP13parent_recordP11work_recordIS0_E,comdat
.Lfunc_end6:
	.size	_Z13gqsort_kernelIdEvPT_S1_P12block_recordIS0_EP13parent_recordP11work_recordIS0_E, .Lfunc_end6-_Z13gqsort_kernelIdEvPT_S1_P12block_recordIS0_EP13parent_recordP11work_recordIS0_E
                                        ; -- End function
	.set _Z13gqsort_kernelIdEvPT_S1_P12block_recordIS0_EP13parent_recordP11work_recordIS0_E.num_vgpr, 22
	.set _Z13gqsort_kernelIdEvPT_S1_P12block_recordIS0_EP13parent_recordP11work_recordIS0_E.num_agpr, 0
	.set _Z13gqsort_kernelIdEvPT_S1_P12block_recordIS0_EP13parent_recordP11work_recordIS0_E.numbered_sgpr, 32
	.set _Z13gqsort_kernelIdEvPT_S1_P12block_recordIS0_EP13parent_recordP11work_recordIS0_E.num_named_barrier, 0
	.set _Z13gqsort_kernelIdEvPT_S1_P12block_recordIS0_EP13parent_recordP11work_recordIS0_E.private_seg_size, 0
	.set _Z13gqsort_kernelIdEvPT_S1_P12block_recordIS0_EP13parent_recordP11work_recordIS0_E.uses_vcc, 1
	.set _Z13gqsort_kernelIdEvPT_S1_P12block_recordIS0_EP13parent_recordP11work_recordIS0_E.uses_flat_scratch, 0
	.set _Z13gqsort_kernelIdEvPT_S1_P12block_recordIS0_EP13parent_recordP11work_recordIS0_E.has_dyn_sized_stack, 0
	.set _Z13gqsort_kernelIdEvPT_S1_P12block_recordIS0_EP13parent_recordP11work_recordIS0_E.has_recursion, 0
	.set _Z13gqsort_kernelIdEvPT_S1_P12block_recordIS0_EP13parent_recordP11work_recordIS0_E.has_indirect_call, 0
	.section	.AMDGPU.csdata,"",@progbits
; Kernel info:
; codeLenInByte = 2988
; TotalNumSgprs: 34
; NumVgprs: 22
; ScratchSize: 0
; MemoryBound: 0
; FloatMode: 240
; IeeeMode: 1
; LDSByteSize: 1048 bytes/workgroup (compile time only)
; SGPRBlocks: 0
; VGPRBlocks: 1
; NumSGPRsForWavesPerEU: 34
; NumVGPRsForWavesPerEU: 22
; NamedBarCnt: 0
; Occupancy: 16
; WaveLimiterHint : 1
; COMPUTE_PGM_RSRC2:SCRATCH_EN: 0
; COMPUTE_PGM_RSRC2:USER_SGPR: 2
; COMPUTE_PGM_RSRC2:TRAP_HANDLER: 0
; COMPUTE_PGM_RSRC2:TGID_X_EN: 1
; COMPUTE_PGM_RSRC2:TGID_Y_EN: 0
; COMPUTE_PGM_RSRC2:TGID_Z_EN: 0
; COMPUTE_PGM_RSRC2:TIDIG_COMP_CNT: 0
	.text
	.p2align	2                               ; -- Begin function _Z14sort_thresholdIdEvPT_S1_jjS1_j
	.type	_Z14sort_thresholdIdEvPT_S1_jjS1_j,@function
_Z14sort_thresholdIdEvPT_S1_jjS1_j:     ; @_Z14sort_thresholdIdEvPT_S1_jjS1_j
; %bb.0:
	s_wait_loadcnt_dscnt 0x0
	s_wait_kmcnt 0x0
	v_sub_nc_u32_e32 v5, v5, v4
	s_mov_b32 s0, exec_lo
	s_delay_alu instid0(VALU_DEP_1)
	v_cmpx_ne_u32_e32 0x100, v5
	s_xor_b32 s1, exec_lo, s0
	s_cbranch_execnz .LBB7_3
; %bb.1:
	s_and_not1_saveexec_b32 s0, s1
	s_cbranch_execnz .LBB7_18
.LBB7_2:
	s_or_b32 exec_lo, exec_lo, s0
	s_wait_dscnt 0x0
	s_set_pc_i64 s[30:31]
.LBB7_3:
	s_mov_b32 s0, exec_lo
	v_cmpx_gt_u32_e32 2, v5
	s_xor_b32 s2, exec_lo, s0
	s_cbranch_execz .LBB7_7
; %bb.4:
	v_cmp_eq_u32_e32 vcc_lo, 1, v5
	v_cmp_eq_u32_e64 s0, 0, v6
	s_and_b32 s3, vcc_lo, s0
	s_delay_alu instid0(SALU_CYCLE_1)
	s_and_saveexec_b32 s0, s3
	s_cbranch_execz .LBB7_6
; %bb.5:
	v_mov_b32_e32 v5, 0
	s_delay_alu instid0(VALU_DEP_1) | instskip(NEXT) | instid1(VALU_DEP_1)
	v_lshlrev_b64_e32 v[4:5], 3, v[4:5]
	v_add_nc_u64_e32 v[0:1], v[0:1], v[4:5]
	v_add_nc_u64_e32 v[2:3], v[2:3], v[4:5]
	flat_load_b64 v[0:1], v[0:1]
	s_wait_loadcnt_dscnt 0x0
	flat_store_b64 v[2:3], v[0:1]
.LBB7_6:
	s_wait_xcnt 0x0
	s_or_b32 exec_lo, exec_lo, s0
                                        ; implicit-def: $vgpr6
                                        ; implicit-def: $vgpr5
                                        ; implicit-def: $vgpr4
                                        ; implicit-def: $vgpr2_vgpr3
                                        ; implicit-def: $vgpr0_vgpr1
.LBB7_7:
	s_and_not1_saveexec_b32 s0, s2
	s_cbranch_execz .LBB7_17
; %bb.8:
	v_lshl_add_u32 v7, v6, 3, 0x6c00
	s_mov_b32 s2, exec_lo
	v_cmpx_gt_u32_e32 0x100, v6
	s_cbranch_execz .LBB7_13
; %bb.9:
	v_lshl_add_u32 v12, v6, 3, 0x6c00
	v_dual_mov_b32 v9, 0 :: v_dual_mov_b32 v13, v6
	s_mov_b32 s3, 0
	s_branch .LBB7_11
.LBB7_10:                               ;   in Loop: Header=BB7_11 Depth=1
	s_wait_xcnt 0x0
	s_or_b32 exec_lo, exec_lo, s4
	v_add_nc_u32_e32 v8, 0x80, v13
	v_cmp_lt_u32_e32 vcc_lo, 0x7f, v13
	s_wait_loadcnt_dscnt 0x0
	ds_store_b64 v12, v[10:11]
	v_dual_mov_b32 v13, v8 :: v_dual_add_nc_u32 v12, 0x400, v12
	s_or_b32 s3, vcc_lo, s3
	s_delay_alu instid0(SALU_CYCLE_1)
	s_and_not1_b32 exec_lo, exec_lo, s3
	s_cbranch_execz .LBB7_13
.LBB7_11:                               ; =>This Inner Loop Header: Depth=1
	v_mov_b64_e32 v[10:11], 0x41efffffffe00000
	s_mov_b32 s4, exec_lo
	v_cmpx_lt_u32_e64 v13, v5
	s_cbranch_execz .LBB7_10
; %bb.12:                               ;   in Loop: Header=BB7_11 Depth=1
	v_add_nc_u32_e32 v8, v4, v13
	s_delay_alu instid0(VALU_DEP_1)
	v_lshl_add_u64 v[10:11], v[8:9], 3, v[0:1]
	flat_load_b64 v[10:11], v[10:11]
	s_branch .LBB7_10
.LBB7_13:
	s_or_b32 exec_lo, exec_lo, s2
	v_dual_lshlrev_b32 v0, 4, v6 :: v_dual_bitop2_b32 v14, 1, v6 bitop3:0x40
	s_wait_storecnt_dscnt 0x0
	s_barrier_signal -1
	s_barrier_wait -1
	ds_load_b128 v[8:11], v0 offset:27648
	v_cmp_eq_u32_e32 vcc_lo, 0, v14
	v_and_b32_e32 v18, 0x7f, v6
	s_mov_b32 s2, 0
	s_mov_b32 s3, exec_lo
	s_wait_dscnt 0x0
	v_cvt_u32_f64_e32 v1, v[8:9]
	v_cvt_u32_f64_e32 v8, v[10:11]
	s_delay_alu instid0(VALU_DEP_1) | instskip(SKIP_1) | instid1(VALU_DEP_1)
	v_max_u32_e32 v9, v1, v8
	v_min_u32_e32 v1, v1, v8
	v_cndmask_b32_e32 v8, v9, v1, vcc_lo
	v_dual_cndmask_b32 v1, v1, v9, vcc_lo :: v_dual_lshlrev_b32 v9, 1, v6
	s_delay_alu instid0(VALU_DEP_2) | instskip(NEXT) | instid1(VALU_DEP_2)
	v_cvt_f64_u32_e32 v[10:11], v8
	v_cvt_f64_u32_e32 v[12:13], v1
	s_delay_alu instid0(VALU_DEP_3) | instskip(NEXT) | instid1(VALU_DEP_1)
	v_sub_nc_u32_e32 v1, v9, v14
	v_lshlrev_b32_e32 v1, 3, v1
	s_delay_alu instid0(VALU_DEP_1)
	v_add_nc_u32_e32 v1, 0x6800, v1
	ds_store_b128 v0, v[10:13] offset:27648
	s_wait_dscnt 0x0
	s_barrier_signal -1
	s_barrier_wait -1
	ds_load_2addr_b64 v[10:13], v1 offset0:128 offset1:130
	s_wait_dscnt 0x0
	v_cvt_u32_f64_e32 v8, v[10:11]
	v_cvt_u32_f64_e32 v10, v[12:13]
	v_and_b32_e32 v11, 2, v6
	s_delay_alu instid0(VALU_DEP_1) | instskip(NEXT) | instid1(VALU_DEP_3)
	v_cmp_eq_u32_e32 vcc_lo, 0, v11
	v_max_u32_e32 v12, v8, v10
	v_min_u32_e32 v8, v8, v10
	s_delay_alu instid0(VALU_DEP_1) | instskip(SKIP_1) | instid1(VALU_DEP_2)
	v_cndmask_b32_e32 v10, v12, v8, vcc_lo
	v_cndmask_b32_e32 v8, v8, v12, vcc_lo
	v_cvt_f64_u32_e32 v[10:11], v10
	s_delay_alu instid0(VALU_DEP_2)
	v_cvt_f64_u32_e32 v[12:13], v8
	ds_store_2addr_b64 v1, v[10:11], v[12:13] offset0:128 offset1:130
	s_wait_dscnt 0x0
	s_barrier_signal -1
	s_barrier_wait -1
	ds_load_b128 v[10:13], v0 offset:27648
	s_wait_dscnt 0x0
	v_cvt_u32_f64_e32 v8, v[10:11]
	v_cvt_u32_f64_e32 v10, v[12:13]
	s_delay_alu instid0(VALU_DEP_1) | instskip(SKIP_1) | instid1(VALU_DEP_1)
	v_max_u32_e32 v11, v8, v10
	v_min_u32_e32 v8, v8, v10
	v_dual_cndmask_b32 v10, v11, v8, vcc_lo :: v_dual_cndmask_b32 v8, v8, v11, vcc_lo
	s_delay_alu instid0(VALU_DEP_1) | instskip(NEXT) | instid1(VALU_DEP_2)
	v_cvt_f64_u32_e32 v[10:11], v10
	v_cvt_f64_u32_e32 v[12:13], v8
	v_and_b32_e32 v8, 3, v6
	s_delay_alu instid0(VALU_DEP_1) | instskip(NEXT) | instid1(VALU_DEP_1)
	v_sub_nc_u32_e32 v8, v9, v8
	v_lshlrev_b32_e32 v8, 3, v8
	s_delay_alu instid0(VALU_DEP_1)
	v_add_nc_u32_e32 v8, 0x6800, v8
	ds_store_b128 v0, v[10:13] offset:27648
	s_wait_dscnt 0x0
	s_barrier_signal -1
	s_barrier_wait -1
	ds_load_2addr_b64 v[10:13], v8 offset0:128 offset1:132
	s_wait_dscnt 0x0
	v_cvt_u32_f64_e32 v10, v[10:11]
	v_cvt_u32_f64_e32 v11, v[12:13]
	v_and_b32_e32 v12, 4, v6
	s_delay_alu instid0(VALU_DEP_1) | instskip(NEXT) | instid1(VALU_DEP_3)
	v_cmp_eq_u32_e32 vcc_lo, 0, v12
	v_max_u32_e32 v13, v10, v11
	v_min_u32_e32 v10, v10, v11
	s_delay_alu instid0(VALU_DEP_1) | instskip(NEXT) | instid1(VALU_DEP_1)
	v_dual_cndmask_b32 v11, v13, v10 :: v_dual_cndmask_b32 v12, v10, v13
	v_cvt_f64_u32_e32 v[10:11], v11
	s_delay_alu instid0(VALU_DEP_2)
	v_cvt_f64_u32_e32 v[12:13], v12
	ds_store_2addr_b64 v8, v[10:11], v[12:13] offset0:128 offset1:132
	s_wait_dscnt 0x0
	s_barrier_signal -1
	s_barrier_wait -1
	ds_load_2addr_b64 v[10:13], v1 offset0:128 offset1:130
	s_wait_dscnt 0x0
	v_cvt_u32_f64_e32 v10, v[10:11]
	v_cvt_u32_f64_e32 v11, v[12:13]
	s_delay_alu instid0(VALU_DEP_1) | instskip(SKIP_1) | instid1(VALU_DEP_1)
	v_max_u32_e32 v12, v10, v11
	v_min_u32_e32 v10, v10, v11
	v_dual_cndmask_b32 v11, v12, v10 :: v_dual_cndmask_b32 v12, v10, v12
	s_delay_alu instid0(VALU_DEP_1) | instskip(NEXT) | instid1(VALU_DEP_2)
	v_cvt_f64_u32_e32 v[10:11], v11
	v_cvt_f64_u32_e32 v[12:13], v12
	ds_store_2addr_b64 v1, v[10:11], v[12:13] offset0:128 offset1:130
	s_wait_dscnt 0x0
	s_barrier_signal -1
	s_barrier_wait -1
	ds_load_b128 v[10:13], v0 offset:27648
	s_wait_dscnt 0x0
	v_cvt_u32_f64_e32 v10, v[10:11]
	v_cvt_u32_f64_e32 v11, v[12:13]
	s_delay_alu instid0(VALU_DEP_1) | instskip(SKIP_1) | instid1(VALU_DEP_1)
	v_max_u32_e32 v12, v10, v11
	v_min_u32_e32 v10, v10, v11
	v_dual_cndmask_b32 v11, v12, v10 :: v_dual_cndmask_b32 v10, v10, v12
	s_delay_alu instid0(VALU_DEP_1) | instskip(NEXT) | instid1(VALU_DEP_2)
	v_cvt_f64_u32_e32 v[12:13], v11
	v_cvt_f64_u32_e32 v[14:15], v10
	v_and_b32_e32 v10, 7, v6
	s_delay_alu instid0(VALU_DEP_1) | instskip(NEXT) | instid1(VALU_DEP_1)
	v_sub_nc_u32_e32 v10, v9, v10
	v_lshlrev_b32_e32 v10, 3, v10
	s_delay_alu instid0(VALU_DEP_1)
	v_add_nc_u32_e32 v10, 0x6800, v10
	ds_store_b128 v0, v[12:15] offset:27648
	s_wait_dscnt 0x0
	s_barrier_signal -1
	s_barrier_wait -1
	ds_load_2addr_b64 v[12:15], v10 offset0:128 offset1:136
	s_wait_dscnt 0x0
	v_cvt_u32_f64_e32 v11, v[12:13]
	v_cvt_u32_f64_e32 v12, v[14:15]
	v_and_b32_e32 v13, 8, v6
	s_delay_alu instid0(VALU_DEP_1) | instskip(NEXT) | instid1(VALU_DEP_3)
	v_cmp_eq_u32_e32 vcc_lo, 0, v13
	v_max_u32_e32 v14, v11, v12
	v_min_u32_e32 v11, v11, v12
	s_delay_alu instid0(VALU_DEP_1) | instskip(NEXT) | instid1(VALU_DEP_1)
	v_dual_cndmask_b32 v12, v14, v11 :: v_dual_cndmask_b32 v11, v11, v14
	v_cvt_f64_u32_e32 v[12:13], v12
	s_delay_alu instid0(VALU_DEP_2)
	v_cvt_f64_u32_e32 v[14:15], v11
	ds_store_2addr_b64 v10, v[12:13], v[14:15] offset0:128 offset1:136
	s_wait_dscnt 0x0
	s_barrier_signal -1
	s_barrier_wait -1
	ds_load_2addr_b64 v[12:15], v8 offset0:128 offset1:132
	s_wait_dscnt 0x0
	v_cvt_u32_f64_e32 v11, v[12:13]
	v_cvt_u32_f64_e32 v12, v[14:15]
	s_delay_alu instid0(VALU_DEP_1) | instskip(SKIP_1) | instid1(VALU_DEP_1)
	v_max_u32_e32 v13, v11, v12
	v_min_u32_e32 v11, v11, v12
	v_dual_cndmask_b32 v12, v13, v11 :: v_dual_cndmask_b32 v11, v11, v13
	s_delay_alu instid0(VALU_DEP_1) | instskip(NEXT) | instid1(VALU_DEP_2)
	v_cvt_f64_u32_e32 v[12:13], v12
	v_cvt_f64_u32_e32 v[14:15], v11
	ds_store_2addr_b64 v8, v[12:13], v[14:15] offset0:128 offset1:132
	s_wait_dscnt 0x0
	s_barrier_signal -1
	s_barrier_wait -1
	ds_load_2addr_b64 v[12:15], v1 offset0:128 offset1:130
	s_wait_dscnt 0x0
	v_cvt_u32_f64_e32 v11, v[12:13]
	v_cvt_u32_f64_e32 v12, v[14:15]
	s_delay_alu instid0(VALU_DEP_1) | instskip(SKIP_1) | instid1(VALU_DEP_1)
	v_max_u32_e32 v13, v11, v12
	v_min_u32_e32 v11, v11, v12
	v_dual_cndmask_b32 v12, v13, v11 :: v_dual_cndmask_b32 v11, v11, v13
	s_delay_alu instid0(VALU_DEP_1) | instskip(NEXT) | instid1(VALU_DEP_2)
	v_cvt_f64_u32_e32 v[12:13], v12
	v_cvt_f64_u32_e32 v[14:15], v11
	ds_store_2addr_b64 v1, v[12:13], v[14:15] offset0:128 offset1:130
	s_wait_dscnt 0x0
	s_barrier_signal -1
	s_barrier_wait -1
	ds_load_b128 v[12:15], v0 offset:27648
	s_wait_dscnt 0x0
	v_cvt_u32_f64_e32 v11, v[12:13]
	v_cvt_u32_f64_e32 v12, v[14:15]
	s_delay_alu instid0(VALU_DEP_1) | instskip(SKIP_1) | instid1(VALU_DEP_1)
	v_max_u32_e32 v13, v11, v12
	v_min_u32_e32 v11, v11, v12
	v_dual_cndmask_b32 v12, v13, v11 :: v_dual_cndmask_b32 v11, v11, v13
	s_delay_alu instid0(VALU_DEP_1) | instskip(NEXT) | instid1(VALU_DEP_2)
	v_cvt_f64_u32_e32 v[12:13], v12
	v_cvt_f64_u32_e32 v[14:15], v11
	v_and_b32_e32 v11, 15, v6
	s_delay_alu instid0(VALU_DEP_1) | instskip(NEXT) | instid1(VALU_DEP_1)
	v_sub_nc_u32_e32 v11, v9, v11
	v_lshlrev_b32_e32 v11, 3, v11
	s_delay_alu instid0(VALU_DEP_1)
	v_add_nc_u32_e32 v11, 0x6800, v11
	ds_store_b128 v0, v[12:15] offset:27648
	s_wait_dscnt 0x0
	s_barrier_signal -1
	s_barrier_wait -1
	ds_load_2addr_b64 v[12:15], v11 offset0:128 offset1:144
	s_wait_dscnt 0x0
	v_cvt_u32_f64_e32 v12, v[12:13]
	v_cvt_u32_f64_e32 v13, v[14:15]
	v_and_b32_e32 v14, 16, v6
	s_delay_alu instid0(VALU_DEP_1) | instskip(NEXT) | instid1(VALU_DEP_3)
	v_cmp_eq_u32_e32 vcc_lo, 0, v14
	v_max_u32_e32 v15, v12, v13
	v_min_u32_e32 v12, v12, v13
	s_delay_alu instid0(VALU_DEP_1) | instskip(NEXT) | instid1(VALU_DEP_1)
	v_dual_cndmask_b32 v13, v15, v12 :: v_dual_cndmask_b32 v14, v12, v15
	v_cvt_f64_u32_e32 v[12:13], v13
	s_delay_alu instid0(VALU_DEP_2)
	v_cvt_f64_u32_e32 v[14:15], v14
	ds_store_2addr_b64 v11, v[12:13], v[14:15] offset0:128 offset1:144
	s_wait_dscnt 0x0
	s_barrier_signal -1
	s_barrier_wait -1
	ds_load_2addr_b64 v[12:15], v10 offset0:128 offset1:136
	s_wait_dscnt 0x0
	v_cvt_u32_f64_e32 v12, v[12:13]
	v_cvt_u32_f64_e32 v13, v[14:15]
	s_delay_alu instid0(VALU_DEP_1) | instskip(SKIP_1) | instid1(VALU_DEP_1)
	v_max_u32_e32 v14, v12, v13
	v_min_u32_e32 v12, v12, v13
	v_dual_cndmask_b32 v13, v14, v12 :: v_dual_cndmask_b32 v14, v12, v14
	s_delay_alu instid0(VALU_DEP_1) | instskip(NEXT) | instid1(VALU_DEP_2)
	v_cvt_f64_u32_e32 v[12:13], v13
	v_cvt_f64_u32_e32 v[14:15], v14
	ds_store_2addr_b64 v10, v[12:13], v[14:15] offset0:128 offset1:136
	s_wait_dscnt 0x0
	s_barrier_signal -1
	s_barrier_wait -1
	ds_load_2addr_b64 v[12:15], v8 offset0:128 offset1:132
	s_wait_dscnt 0x0
	v_cvt_u32_f64_e32 v12, v[12:13]
	v_cvt_u32_f64_e32 v13, v[14:15]
	s_delay_alu instid0(VALU_DEP_1) | instskip(SKIP_1) | instid1(VALU_DEP_1)
	v_max_u32_e32 v14, v12, v13
	v_min_u32_e32 v12, v12, v13
	v_dual_cndmask_b32 v13, v14, v12 :: v_dual_cndmask_b32 v14, v12, v14
	s_delay_alu instid0(VALU_DEP_1) | instskip(NEXT) | instid1(VALU_DEP_2)
	v_cvt_f64_u32_e32 v[12:13], v13
	;; [unrolled: 15-line block ×3, first 2 shown]
	v_cvt_f64_u32_e32 v[14:15], v14
	ds_store_2addr_b64 v1, v[12:13], v[14:15] offset0:128 offset1:130
	s_wait_dscnt 0x0
	s_barrier_signal -1
	s_barrier_wait -1
	ds_load_b128 v[12:15], v0 offset:27648
	s_wait_dscnt 0x0
	v_cvt_u32_f64_e32 v12, v[12:13]
	v_cvt_u32_f64_e32 v13, v[14:15]
	s_delay_alu instid0(VALU_DEP_1) | instskip(SKIP_1) | instid1(VALU_DEP_1)
	v_max_u32_e32 v14, v12, v13
	v_min_u32_e32 v12, v12, v13
	v_dual_cndmask_b32 v13, v14, v12 :: v_dual_cndmask_b32 v12, v12, v14
	s_delay_alu instid0(VALU_DEP_1) | instskip(NEXT) | instid1(VALU_DEP_2)
	v_cvt_f64_u32_e32 v[14:15], v13
	v_cvt_f64_u32_e32 v[16:17], v12
	v_and_b32_e32 v12, 31, v6
	s_delay_alu instid0(VALU_DEP_1) | instskip(NEXT) | instid1(VALU_DEP_1)
	v_sub_nc_u32_e32 v12, v9, v12
	v_lshlrev_b32_e32 v12, 3, v12
	s_delay_alu instid0(VALU_DEP_1)
	v_add_nc_u32_e32 v12, 0x6800, v12
	ds_store_b128 v0, v[14:17] offset:27648
	s_wait_dscnt 0x0
	s_barrier_signal -1
	s_barrier_wait -1
	ds_load_2addr_b64 v[14:17], v12 offset0:128 offset1:160
	s_wait_dscnt 0x0
	v_cvt_u32_f64_e32 v13, v[14:15]
	v_cvt_u32_f64_e32 v14, v[16:17]
	v_and_b32_e32 v15, 32, v6
	s_delay_alu instid0(VALU_DEP_1) | instskip(NEXT) | instid1(VALU_DEP_3)
	v_cmp_eq_u32_e32 vcc_lo, 0, v15
	v_max_u32_e32 v16, v13, v14
	v_min_u32_e32 v13, v13, v14
	s_delay_alu instid0(VALU_DEP_1) | instskip(NEXT) | instid1(VALU_DEP_1)
	v_dual_cndmask_b32 v14, v16, v13 :: v_dual_cndmask_b32 v13, v13, v16
	v_cvt_f64_u32_e32 v[14:15], v14
	s_delay_alu instid0(VALU_DEP_2)
	v_cvt_f64_u32_e32 v[16:17], v13
	ds_store_2addr_b64 v12, v[14:15], v[16:17] offset0:128 offset1:160
	s_wait_dscnt 0x0
	s_barrier_signal -1
	s_barrier_wait -1
	ds_load_2addr_b64 v[14:17], v11 offset0:128 offset1:144
	s_wait_dscnt 0x0
	v_cvt_u32_f64_e32 v13, v[14:15]
	v_cvt_u32_f64_e32 v14, v[16:17]
	s_delay_alu instid0(VALU_DEP_1) | instskip(SKIP_1) | instid1(VALU_DEP_1)
	v_max_u32_e32 v15, v13, v14
	v_min_u32_e32 v13, v13, v14
	v_dual_cndmask_b32 v14, v15, v13 :: v_dual_cndmask_b32 v13, v13, v15
	s_delay_alu instid0(VALU_DEP_1) | instskip(NEXT) | instid1(VALU_DEP_2)
	v_cvt_f64_u32_e32 v[14:15], v14
	v_cvt_f64_u32_e32 v[16:17], v13
	ds_store_2addr_b64 v11, v[14:15], v[16:17] offset0:128 offset1:144
	s_wait_dscnt 0x0
	s_barrier_signal -1
	s_barrier_wait -1
	ds_load_2addr_b64 v[14:17], v10 offset0:128 offset1:136
	s_wait_dscnt 0x0
	v_cvt_u32_f64_e32 v13, v[14:15]
	v_cvt_u32_f64_e32 v14, v[16:17]
	s_delay_alu instid0(VALU_DEP_1) | instskip(SKIP_1) | instid1(VALU_DEP_1)
	v_max_u32_e32 v15, v13, v14
	v_min_u32_e32 v13, v13, v14
	v_dual_cndmask_b32 v14, v15, v13 :: v_dual_cndmask_b32 v13, v13, v15
	s_delay_alu instid0(VALU_DEP_1) | instskip(NEXT) | instid1(VALU_DEP_2)
	v_cvt_f64_u32_e32 v[14:15], v14
	;; [unrolled: 15-line block ×4, first 2 shown]
	v_cvt_f64_u32_e32 v[16:17], v13
	ds_store_2addr_b64 v1, v[14:15], v[16:17] offset0:128 offset1:130
	s_wait_dscnt 0x0
	s_barrier_signal -1
	s_barrier_wait -1
	ds_load_b128 v[14:17], v0 offset:27648
	s_wait_dscnt 0x0
	v_cvt_u32_f64_e32 v13, v[14:15]
	v_cvt_u32_f64_e32 v14, v[16:17]
	s_delay_alu instid0(VALU_DEP_1) | instskip(SKIP_1) | instid1(VALU_DEP_1)
	v_max_u32_e32 v15, v13, v14
	v_min_u32_e32 v13, v13, v14
	v_dual_cndmask_b32 v14, v15, v13 :: v_dual_cndmask_b32 v13, v13, v15
	s_delay_alu instid0(VALU_DEP_1) | instskip(NEXT) | instid1(VALU_DEP_2)
	v_cvt_f64_u32_e32 v[14:15], v14
	v_cvt_f64_u32_e32 v[16:17], v13
	v_and_b32_e32 v13, 63, v6
	s_delay_alu instid0(VALU_DEP_1) | instskip(NEXT) | instid1(VALU_DEP_1)
	v_dual_sub_nc_u32 v13, v9, v13 :: v_dual_sub_nc_u32 v9, v9, v18
	v_lshlrev_b32_e32 v13, 3, v13
	s_delay_alu instid0(VALU_DEP_2)
	v_lshlrev_b32_e32 v9, 3, v9
	ds_store_b128 v0, v[14:17] offset:27648
	s_wait_dscnt 0x0
	s_barrier_signal -1
	s_barrier_wait -1
	ds_load_2addr_stride64_b64 v[14:17], v13 offset0:54 offset1:55
	s_wait_dscnt 0x0
	v_cvt_u32_f64_e32 v14, v[14:15]
	v_cvt_u32_f64_e32 v15, v[16:17]
	v_and_b32_e32 v16, 64, v6
	s_delay_alu instid0(VALU_DEP_1) | instskip(NEXT) | instid1(VALU_DEP_3)
	v_cmp_eq_u32_e32 vcc_lo, 0, v16
	v_max_u32_e32 v17, v14, v15
	v_min_u32_e32 v14, v14, v15
	s_delay_alu instid0(VALU_DEP_1) | instskip(NEXT) | instid1(VALU_DEP_1)
	v_dual_cndmask_b32 v15, v17, v14 :: v_dual_cndmask_b32 v16, v14, v17
	v_cvt_f64_u32_e32 v[14:15], v15
	s_delay_alu instid0(VALU_DEP_2)
	v_cvt_f64_u32_e32 v[16:17], v16
	ds_store_2addr_stride64_b64 v13, v[14:15], v[16:17] offset0:54 offset1:55
	s_wait_dscnt 0x0
	s_barrier_signal -1
	s_barrier_wait -1
	ds_load_2addr_b64 v[14:17], v12 offset0:128 offset1:160
	s_wait_dscnt 0x0
	v_cvt_u32_f64_e32 v14, v[14:15]
	v_cvt_u32_f64_e32 v15, v[16:17]
	s_delay_alu instid0(VALU_DEP_1) | instskip(SKIP_1) | instid1(VALU_DEP_1)
	v_max_u32_e32 v16, v14, v15
	v_min_u32_e32 v14, v14, v15
	v_dual_cndmask_b32 v15, v16, v14 :: v_dual_cndmask_b32 v16, v14, v16
	s_delay_alu instid0(VALU_DEP_1) | instskip(NEXT) | instid1(VALU_DEP_2)
	v_cvt_f64_u32_e32 v[14:15], v15
	v_cvt_f64_u32_e32 v[16:17], v16
	ds_store_2addr_b64 v12, v[14:15], v[16:17] offset0:128 offset1:160
	s_wait_dscnt 0x0
	s_barrier_signal -1
	s_barrier_wait -1
	ds_load_2addr_b64 v[14:17], v11 offset0:128 offset1:144
	s_wait_dscnt 0x0
	v_cvt_u32_f64_e32 v14, v[14:15]
	v_cvt_u32_f64_e32 v15, v[16:17]
	s_delay_alu instid0(VALU_DEP_1) | instskip(SKIP_1) | instid1(VALU_DEP_1)
	v_max_u32_e32 v16, v14, v15
	v_min_u32_e32 v14, v14, v15
	v_dual_cndmask_b32 v15, v16, v14 :: v_dual_cndmask_b32 v16, v14, v16
	s_delay_alu instid0(VALU_DEP_1) | instskip(NEXT) | instid1(VALU_DEP_2)
	v_cvt_f64_u32_e32 v[14:15], v15
	v_cvt_f64_u32_e32 v[16:17], v16
	ds_store_2addr_b64 v11, v[14:15], v[16:17] offset0:128 offset1:144
	;; [unrolled: 15-line block ×5, first 2 shown]
	s_wait_dscnt 0x0
	s_barrier_signal -1
	s_barrier_wait -1
	ds_load_b128 v[14:17], v0 offset:27648
	s_wait_dscnt 0x0
	v_cvt_u32_f64_e32 v14, v[14:15]
	v_cvt_u32_f64_e32 v15, v[16:17]
	s_delay_alu instid0(VALU_DEP_1) | instskip(SKIP_1) | instid1(VALU_DEP_1)
	v_max_u32_e32 v16, v14, v15
	v_min_u32_e32 v14, v14, v15
	v_dual_cndmask_b32 v15, v16, v14 :: v_dual_cndmask_b32 v16, v14, v16
	s_delay_alu instid0(VALU_DEP_1) | instskip(NEXT) | instid1(VALU_DEP_2)
	v_cvt_f64_u32_e32 v[14:15], v15
	v_cvt_f64_u32_e32 v[16:17], v16
	ds_store_b128 v0, v[14:17] offset:27648
	s_wait_dscnt 0x0
	s_barrier_signal -1
	s_barrier_wait -1
	ds_load_2addr_stride64_b64 v[14:17], v9 offset0:54 offset1:56
	s_wait_dscnt 0x0
	v_cvt_u32_f64_e32 v14, v[14:15]
	v_cvt_u32_f64_e32 v15, v[16:17]
	s_delay_alu instid0(VALU_DEP_1) | instskip(SKIP_1) | instid1(VALU_DEP_2)
	v_min_u32_e32 v16, v14, v15
	v_max_u32_e32 v17, v14, v15
	v_cvt_f64_u32_e32 v[14:15], v16
	s_delay_alu instid0(VALU_DEP_2)
	v_cvt_f64_u32_e32 v[16:17], v17
	ds_store_2addr_stride64_b64 v9, v[14:15], v[16:17] offset0:54 offset1:56
	s_wait_dscnt 0x0
	s_barrier_signal -1
	s_barrier_wait -1
	ds_load_2addr_stride64_b64 v[14:17], v13 offset0:54 offset1:55
	s_wait_dscnt 0x0
	v_cvt_u32_f64_e32 v9, v[14:15]
	v_cvt_u32_f64_e32 v14, v[16:17]
	s_delay_alu instid0(VALU_DEP_1) | instskip(SKIP_1) | instid1(VALU_DEP_2)
	v_min_u32_e32 v15, v9, v14
	v_max_u32_e32 v9, v9, v14
	v_cvt_f64_u32_e32 v[14:15], v15
	s_delay_alu instid0(VALU_DEP_2)
	v_cvt_f64_u32_e32 v[16:17], v9
	ds_store_2addr_stride64_b64 v13, v[14:15], v[16:17] offset0:54 offset1:55
	s_wait_dscnt 0x0
	s_barrier_signal -1
	s_barrier_wait -1
	ds_load_2addr_b64 v[14:17], v12 offset0:128 offset1:160
	s_wait_dscnt 0x0
	v_cvt_u32_f64_e32 v9, v[14:15]
	v_cvt_u32_f64_e32 v13, v[16:17]
	s_delay_alu instid0(VALU_DEP_1) | instskip(SKIP_1) | instid1(VALU_DEP_2)
	v_min_u32_e32 v14, v9, v13
	v_max_u32_e32 v9, v9, v13
	v_cvt_f64_u32_e32 v[14:15], v14
	s_delay_alu instid0(VALU_DEP_2)
	v_cvt_f64_u32_e32 v[16:17], v9
	ds_store_2addr_b64 v12, v[14:15], v[16:17] offset0:128 offset1:160
	s_wait_dscnt 0x0
	s_barrier_signal -1
	s_barrier_wait -1
	ds_load_2addr_b64 v[12:15], v11 offset0:128 offset1:144
	s_wait_dscnt 0x0
	v_cvt_u32_f64_e32 v9, v[12:13]
	v_cvt_u32_f64_e32 v12, v[14:15]
	s_delay_alu instid0(VALU_DEP_1) | instskip(SKIP_1) | instid1(VALU_DEP_2)
	v_min_u32_e32 v13, v9, v12
	v_max_u32_e32 v9, v9, v12
	v_cvt_f64_u32_e32 v[12:13], v13
	s_delay_alu instid0(VALU_DEP_2)
	v_cvt_f64_u32_e32 v[14:15], v9
	ds_store_2addr_b64 v11, v[12:13], v[14:15] offset0:128 offset1:144
	;; [unrolled: 14-line block ×5, first 2 shown]
	s_wait_dscnt 0x0
	s_barrier_signal -1
	s_barrier_wait -1
	ds_load_b128 v[8:11], v0 offset:27648
	s_wait_dscnt 0x0
	v_cvt_u32_f64_e32 v1, v[8:9]
	v_cvt_u32_f64_e32 v8, v[10:11]
	s_delay_alu instid0(VALU_DEP_1) | instskip(SKIP_1) | instid1(VALU_DEP_2)
	v_min_u32_e32 v9, v1, v8
	v_max_u32_e32 v1, v1, v8
	v_cvt_f64_u32_e32 v[8:9], v9
	s_delay_alu instid0(VALU_DEP_2)
	v_cvt_f64_u32_e32 v[10:11], v1
	ds_store_b128 v0, v[8:11] offset:27648
	s_wait_dscnt 0x0
	s_barrier_signal -1
	s_barrier_wait -1
	v_cmpx_lt_u32_e64 v6, v5
	s_cbranch_execz .LBB7_16
; %bb.14:
	v_mov_b32_e32 v1, 0
.LBB7_15:                               ; =>This Inner Loop Header: Depth=1
	ds_load_b64 v[8:9], v7
	v_add_nc_u32_e32 v0, v4, v6
	v_add_nc_u32_e32 v6, 0x80, v6
	;; [unrolled: 1-line block ×3, first 2 shown]
	s_delay_alu instid0(VALU_DEP_3) | instskip(NEXT) | instid1(VALU_DEP_3)
	v_lshl_add_u64 v[10:11], v[0:1], 3, v[2:3]
	v_cmp_ge_u32_e32 vcc_lo, v6, v5
	s_or_b32 s2, vcc_lo, s2
	s_wait_dscnt 0x0
	flat_store_b64 v[10:11], v[8:9]
	s_wait_xcnt 0x0
	s_and_not1_b32 exec_lo, exec_lo, s2
	s_cbranch_execnz .LBB7_15
.LBB7_16:
	s_or_b32 exec_lo, exec_lo, s3
.LBB7_17:
	s_delay_alu instid0(SALU_CYCLE_1)
	s_or_b32 exec_lo, exec_lo, s0
                                        ; implicit-def: $vgpr4
                                        ; implicit-def: $vgpr0_vgpr1
                                        ; implicit-def: $vgpr6
                                        ; implicit-def: $vgpr2_vgpr3
	s_and_not1_saveexec_b32 s0, s1
	s_cbranch_execz .LBB7_2
.LBB7_18:
	v_dual_mov_b32 v9, 0 :: v_dual_lshlrev_b32 v8, 1, v6
	s_mov_b32 s1, 0
	s_mov_b32 s2, exec_lo
	s_delay_alu instid0(VALU_DEP_1) | instskip(NEXT) | instid1(VALU_DEP_1)
	v_mov_b32_e32 v5, v9
	v_lshl_add_u64 v[18:19], v[4:5], 3, v[0:1]
	s_delay_alu instid0(VALU_DEP_1)
	v_lshl_add_u64 v[10:11], v[8:9], 3, v[18:19]
	flat_load_b128 v[12:15], v[10:11]
	s_wait_loadcnt_dscnt 0x0
	v_cvt_u32_f64_e32 v5, v[12:13]
	v_cvt_u32_f64_e32 v7, v[14:15]
	v_dual_mov_b32 v15, v9 :: v_dual_bitop2_b32 v12, 1, v6 bitop3:0x40
	s_delay_alu instid0(VALU_DEP_1) | instskip(SKIP_1) | instid1(VALU_DEP_4)
	v_cmp_eq_u32_e32 vcc_lo, 0, v12
	v_sub_nc_u32_e32 v14, v8, v12
	v_max_u32_e32 v13, v5, v7
	v_min_u32_e32 v5, v5, v7
	s_delay_alu instid0(VALU_DEP_1) | instskip(SKIP_3) | instid1(VALU_DEP_4)
	v_cndmask_b32_e32 v7, v13, v5, vcc_lo
	v_cndmask_b32_e32 v5, v5, v13, vcc_lo
	v_lshl_add_u64 v[12:13], v[14:15], 3, v[18:19]
	v_ashrrev_i32_e32 v15, 31, v14
	v_cvt_f64_u32_e32 v[20:21], v7
	s_delay_alu instid0(VALU_DEP_4) | instskip(NEXT) | instid1(VALU_DEP_3)
	v_cvt_f64_u32_e32 v[22:23], v5
	v_lshl_add_u64 v[14:15], v[14:15], 3, v[18:19]
	flat_store_b128 v[10:11], v[20:23]
	s_wait_storecnt_dscnt 0x0
	s_barrier_signal -1
	s_barrier_wait -1
	s_clause 0x1
	flat_load_b64 v[16:17], v[12:13]
	flat_load_b64 v[20:21], v[14:15] offset:16
	s_wait_loadcnt_dscnt 0x101
	v_cvt_u32_f64_e32 v5, v[16:17]
	s_wait_loadcnt_dscnt 0x0
	v_cvt_u32_f64_e32 v7, v[20:21]
	v_and_b32_e32 v16, 2, v6
	s_delay_alu instid0(VALU_DEP_1) | instskip(NEXT) | instid1(VALU_DEP_3)
	v_cmp_eq_u32_e32 vcc_lo, 0, v16
	v_max_u32_e32 v17, v5, v7
	v_min_u32_e32 v5, v5, v7
	s_delay_alu instid0(VALU_DEP_1) | instskip(SKIP_1) | instid1(VALU_DEP_2)
	v_cndmask_b32_e32 v7, v17, v5, vcc_lo
	v_cndmask_b32_e32 v5, v5, v17, vcc_lo
	v_cvt_f64_u32_e32 v[16:17], v7
	s_delay_alu instid0(VALU_DEP_2)
	v_cvt_f64_u32_e32 v[20:21], v5
	s_clause 0x1
	flat_store_b64 v[12:13], v[16:17]
	flat_store_b64 v[14:15], v[20:21] offset:16
	s_wait_storecnt_dscnt 0x0
	s_barrier_signal -1
	s_barrier_wait -1
	flat_load_b128 v[20:23], v[10:11]
	s_wait_loadcnt_dscnt 0x0
	v_cvt_u32_f64_e32 v5, v[20:21]
	v_cvt_u32_f64_e32 v7, v[22:23]
	v_mov_b32_e32 v21, v9
	s_delay_alu instid0(VALU_DEP_2) | instskip(SKIP_1) | instid1(VALU_DEP_1)
	v_max_u32_e32 v16, v5, v7
	v_min_u32_e32 v5, v5, v7
	v_dual_cndmask_b32 v7, v16, v5, vcc_lo :: v_dual_cndmask_b32 v5, v5, v16, vcc_lo
	s_delay_alu instid0(VALU_DEP_1) | instskip(NEXT) | instid1(VALU_DEP_2)
	v_cvt_f64_u32_e32 v[22:23], v7
	v_cvt_f64_u32_e32 v[24:25], v5
	v_and_b32_e32 v5, 3, v6
	s_delay_alu instid0(VALU_DEP_1) | instskip(NEXT) | instid1(VALU_DEP_1)
	v_sub_nc_u32_e32 v20, v8, v5
	v_lshl_add_u64 v[16:17], v[20:21], 3, v[18:19]
	v_ashrrev_i32_e32 v21, 31, v20
	s_delay_alu instid0(VALU_DEP_1)
	v_lshl_add_u64 v[20:21], v[20:21], 3, v[18:19]
	flat_store_b128 v[10:11], v[22:25]
	s_wait_storecnt_dscnt 0x0
	s_barrier_signal -1
	s_barrier_wait -1
	s_clause 0x1
	flat_load_b64 v[22:23], v[16:17]
	flat_load_b64 v[24:25], v[20:21] offset:32
	s_wait_loadcnt_dscnt 0x101
	v_cvt_u32_f64_e32 v5, v[22:23]
	s_wait_loadcnt_dscnt 0x0
	v_cvt_u32_f64_e32 v7, v[24:25]
	s_delay_alu instid0(VALU_DEP_1) | instskip(SKIP_2) | instid1(VALU_DEP_1)
	v_max_u32_e32 v23, v5, v7
	v_min_u32_e32 v5, v5, v7
	v_and_b32_e32 v22, 4, v6
	v_cmp_eq_u32_e32 vcc_lo, 0, v22
	s_delay_alu instid0(VALU_DEP_3) | instskip(NEXT) | instid1(VALU_DEP_1)
	v_dual_cndmask_b32 v7, v23, v5, vcc_lo :: v_dual_cndmask_b32 v5, v5, v23, vcc_lo
	v_cvt_f64_u32_e32 v[22:23], v7
	s_delay_alu instid0(VALU_DEP_2)
	v_cvt_f64_u32_e32 v[24:25], v5
	s_clause 0x1
	flat_store_b64 v[16:17], v[22:23]
	flat_store_b64 v[20:21], v[24:25] offset:32
	s_wait_storecnt_dscnt 0x0
	s_barrier_signal -1
	s_barrier_wait -1
	s_clause 0x1
	flat_load_b64 v[22:23], v[12:13]
	flat_load_b64 v[24:25], v[14:15] offset:16
	s_wait_loadcnt_dscnt 0x101
	v_cvt_u32_f64_e32 v5, v[22:23]
	s_wait_loadcnt_dscnt 0x0
	v_cvt_u32_f64_e32 v7, v[24:25]
	s_delay_alu instid0(VALU_DEP_1) | instskip(SKIP_1) | instid1(VALU_DEP_1)
	v_max_u32_e32 v22, v5, v7
	v_min_u32_e32 v5, v5, v7
	v_dual_cndmask_b32 v7, v22, v5, vcc_lo :: v_dual_cndmask_b32 v5, v5, v22, vcc_lo
	s_delay_alu instid0(VALU_DEP_1) | instskip(NEXT) | instid1(VALU_DEP_2)
	v_cvt_f64_u32_e32 v[22:23], v7
	v_cvt_f64_u32_e32 v[24:25], v5
	s_clause 0x1
	flat_store_b64 v[12:13], v[22:23]
	flat_store_b64 v[14:15], v[24:25] offset:16
	s_wait_storecnt_dscnt 0x0
	s_barrier_signal -1
	s_barrier_wait -1
	flat_load_b128 v[22:25], v[10:11]
	s_wait_loadcnt_dscnt 0x0
	v_cvt_u32_f64_e32 v5, v[22:23]
	v_cvt_u32_f64_e32 v7, v[24:25]
	v_mov_b32_e32 v25, v9
	s_delay_alu instid0(VALU_DEP_2) | instskip(SKIP_1) | instid1(VALU_DEP_1)
	v_max_u32_e32 v22, v5, v7
	v_min_u32_e32 v5, v5, v7
	v_dual_cndmask_b32 v7, v22, v5, vcc_lo :: v_dual_cndmask_b32 v5, v5, v22, vcc_lo
	s_delay_alu instid0(VALU_DEP_1) | instskip(NEXT) | instid1(VALU_DEP_2)
	v_cvt_f64_u32_e32 v[26:27], v7
	v_cvt_f64_u32_e32 v[28:29], v5
	v_and_b32_e32 v5, 7, v6
	s_delay_alu instid0(VALU_DEP_1) | instskip(NEXT) | instid1(VALU_DEP_1)
	v_sub_nc_u32_e32 v24, v8, v5
	v_lshl_add_u64 v[22:23], v[24:25], 3, v[18:19]
	v_ashrrev_i32_e32 v25, 31, v24
	s_delay_alu instid0(VALU_DEP_1)
	v_lshl_add_u64 v[24:25], v[24:25], 3, v[18:19]
	flat_store_b128 v[10:11], v[26:29]
	s_wait_storecnt_dscnt 0x0
	s_barrier_signal -1
	s_barrier_wait -1
	s_clause 0x1
	flat_load_b64 v[26:27], v[22:23]
	flat_load_b64 v[28:29], v[24:25] offset:64
	s_wait_loadcnt_dscnt 0x101
	v_cvt_u32_f64_e32 v5, v[26:27]
	s_wait_loadcnt_dscnt 0x0
	v_cvt_u32_f64_e32 v7, v[28:29]
	v_and_b32_e32 v26, 8, v6
	s_delay_alu instid0(VALU_DEP_1) | instskip(NEXT) | instid1(VALU_DEP_3)
	v_cmp_eq_u32_e32 vcc_lo, 0, v26
	v_max_u32_e32 v27, v5, v7
	v_min_u32_e32 v5, v5, v7
	s_delay_alu instid0(VALU_DEP_1) | instskip(NEXT) | instid1(VALU_DEP_1)
	v_dual_cndmask_b32 v7, v27, v5, vcc_lo :: v_dual_cndmask_b32 v5, v5, v27, vcc_lo
	v_cvt_f64_u32_e32 v[26:27], v7
	s_delay_alu instid0(VALU_DEP_2)
	v_cvt_f64_u32_e32 v[28:29], v5
	s_clause 0x1
	flat_store_b64 v[22:23], v[26:27]
	flat_store_b64 v[24:25], v[28:29] offset:64
	s_wait_storecnt_dscnt 0x0
	s_barrier_signal -1
	s_barrier_wait -1
	s_clause 0x1
	flat_load_b64 v[26:27], v[16:17]
	flat_load_b64 v[28:29], v[20:21] offset:32
	s_wait_loadcnt_dscnt 0x101
	v_cvt_u32_f64_e32 v5, v[26:27]
	s_wait_loadcnt_dscnt 0x0
	v_cvt_u32_f64_e32 v7, v[28:29]
	s_delay_alu instid0(VALU_DEP_1) | instskip(SKIP_1) | instid1(VALU_DEP_1)
	v_max_u32_e32 v26, v5, v7
	v_min_u32_e32 v5, v5, v7
	v_dual_cndmask_b32 v7, v26, v5, vcc_lo :: v_dual_cndmask_b32 v5, v5, v26, vcc_lo
	s_delay_alu instid0(VALU_DEP_1) | instskip(NEXT) | instid1(VALU_DEP_2)
	v_cvt_f64_u32_e32 v[26:27], v7
	v_cvt_f64_u32_e32 v[28:29], v5
	s_clause 0x1
	flat_store_b64 v[16:17], v[26:27]
	flat_store_b64 v[20:21], v[28:29] offset:32
	s_wait_storecnt_dscnt 0x0
	s_barrier_signal -1
	s_barrier_wait -1
	s_clause 0x1
	flat_load_b64 v[26:27], v[12:13]
	flat_load_b64 v[28:29], v[14:15] offset:16
	s_wait_loadcnt_dscnt 0x101
	v_cvt_u32_f64_e32 v5, v[26:27]
	s_wait_loadcnt_dscnt 0x0
	v_cvt_u32_f64_e32 v7, v[28:29]
	s_delay_alu instid0(VALU_DEP_1) | instskip(SKIP_1) | instid1(VALU_DEP_1)
	v_max_u32_e32 v26, v5, v7
	v_min_u32_e32 v5, v5, v7
	v_dual_cndmask_b32 v7, v26, v5, vcc_lo :: v_dual_cndmask_b32 v5, v5, v26, vcc_lo
	s_delay_alu instid0(VALU_DEP_1) | instskip(NEXT) | instid1(VALU_DEP_2)
	v_cvt_f64_u32_e32 v[26:27], v7
	v_cvt_f64_u32_e32 v[28:29], v5
	s_clause 0x1
	flat_store_b64 v[12:13], v[26:27]
	flat_store_b64 v[14:15], v[28:29] offset:16
	s_wait_storecnt_dscnt 0x0
	s_barrier_signal -1
	s_barrier_wait -1
	flat_load_b128 v[26:29], v[10:11]
	s_wait_loadcnt_dscnt 0x0
	v_cvt_u32_f64_e32 v5, v[26:27]
	v_cvt_u32_f64_e32 v7, v[28:29]
	v_mov_b32_e32 v29, v9
	s_delay_alu instid0(VALU_DEP_2) | instskip(SKIP_1) | instid1(VALU_DEP_1)
	v_max_u32_e32 v26, v5, v7
	v_min_u32_e32 v5, v5, v7
	v_dual_cndmask_b32 v7, v26, v5, vcc_lo :: v_dual_cndmask_b32 v5, v5, v26, vcc_lo
	s_delay_alu instid0(VALU_DEP_1) | instskip(NEXT) | instid1(VALU_DEP_2)
	v_cvt_f64_u32_e32 v[30:31], v7
	v_cvt_f64_u32_e32 v[32:33], v5
	v_and_b32_e32 v5, 15, v6
	s_delay_alu instid0(VALU_DEP_1) | instskip(NEXT) | instid1(VALU_DEP_1)
	v_sub_nc_u32_e32 v28, v8, v5
	v_lshl_add_u64 v[26:27], v[28:29], 3, v[18:19]
	v_ashrrev_i32_e32 v29, 31, v28
	s_delay_alu instid0(VALU_DEP_1)
	v_lshl_add_u64 v[28:29], v[28:29], 3, v[18:19]
	flat_store_b128 v[10:11], v[30:33]
	s_wait_storecnt_dscnt 0x0
	s_barrier_signal -1
	s_barrier_wait -1
	s_clause 0x1
	flat_load_b64 v[30:31], v[26:27]
	flat_load_b64 v[32:33], v[28:29] offset:128
	s_wait_loadcnt_dscnt 0x101
	v_cvt_u32_f64_e32 v5, v[30:31]
	s_wait_loadcnt_dscnt 0x0
	v_cvt_u32_f64_e32 v7, v[32:33]
	v_and_b32_e32 v30, 16, v6
	s_delay_alu instid0(VALU_DEP_1) | instskip(NEXT) | instid1(VALU_DEP_3)
	v_cmp_eq_u32_e32 vcc_lo, 0, v30
	v_max_u32_e32 v31, v5, v7
	v_min_u32_e32 v5, v5, v7
	s_delay_alu instid0(VALU_DEP_1) | instskip(NEXT) | instid1(VALU_DEP_1)
	v_dual_cndmask_b32 v7, v31, v5, vcc_lo :: v_dual_cndmask_b32 v5, v5, v31, vcc_lo
	v_cvt_f64_u32_e32 v[30:31], v7
	s_delay_alu instid0(VALU_DEP_2)
	v_cvt_f64_u32_e32 v[32:33], v5
	s_clause 0x1
	flat_store_b64 v[26:27], v[30:31]
	flat_store_b64 v[28:29], v[32:33] offset:128
	s_wait_storecnt_dscnt 0x0
	s_barrier_signal -1
	s_barrier_wait -1
	s_clause 0x1
	flat_load_b64 v[30:31], v[22:23]
	flat_load_b64 v[32:33], v[24:25] offset:64
	s_wait_loadcnt_dscnt 0x101
	v_cvt_u32_f64_e32 v5, v[30:31]
	s_wait_loadcnt_dscnt 0x0
	v_cvt_u32_f64_e32 v7, v[32:33]
	s_delay_alu instid0(VALU_DEP_1) | instskip(SKIP_1) | instid1(VALU_DEP_1)
	v_max_u32_e32 v30, v5, v7
	v_min_u32_e32 v5, v5, v7
	v_dual_cndmask_b32 v7, v30, v5, vcc_lo :: v_dual_cndmask_b32 v5, v5, v30, vcc_lo
	s_delay_alu instid0(VALU_DEP_1) | instskip(NEXT) | instid1(VALU_DEP_2)
	v_cvt_f64_u32_e32 v[30:31], v7
	v_cvt_f64_u32_e32 v[32:33], v5
	s_clause 0x1
	flat_store_b64 v[22:23], v[30:31]
	flat_store_b64 v[24:25], v[32:33] offset:64
	s_wait_storecnt_dscnt 0x0
	s_barrier_signal -1
	s_barrier_wait -1
	s_clause 0x1
	flat_load_b64 v[30:31], v[16:17]
	flat_load_b64 v[32:33], v[20:21] offset:32
	s_wait_loadcnt_dscnt 0x101
	v_cvt_u32_f64_e32 v5, v[30:31]
	s_wait_loadcnt_dscnt 0x0
	v_cvt_u32_f64_e32 v7, v[32:33]
	s_delay_alu instid0(VALU_DEP_1) | instskip(SKIP_1) | instid1(VALU_DEP_1)
	v_max_u32_e32 v30, v5, v7
	v_min_u32_e32 v5, v5, v7
	v_dual_cndmask_b32 v7, v30, v5, vcc_lo :: v_dual_cndmask_b32 v5, v5, v30, vcc_lo
	s_delay_alu instid0(VALU_DEP_1) | instskip(NEXT) | instid1(VALU_DEP_2)
	v_cvt_f64_u32_e32 v[30:31], v7
	;; [unrolled: 20-line block ×3, first 2 shown]
	v_cvt_f64_u32_e32 v[32:33], v5
	s_clause 0x1
	flat_store_b64 v[12:13], v[30:31]
	flat_store_b64 v[14:15], v[32:33] offset:16
	s_wait_storecnt_dscnt 0x0
	s_barrier_signal -1
	s_barrier_wait -1
	flat_load_b128 v[30:33], v[10:11]
	s_wait_loadcnt_dscnt 0x0
	v_cvt_u32_f64_e32 v5, v[30:31]
	v_cvt_u32_f64_e32 v7, v[32:33]
	v_mov_b32_e32 v33, v9
	s_delay_alu instid0(VALU_DEP_2) | instskip(SKIP_1) | instid1(VALU_DEP_1)
	v_max_u32_e32 v30, v5, v7
	v_min_u32_e32 v5, v5, v7
	v_dual_cndmask_b32 v7, v30, v5, vcc_lo :: v_dual_cndmask_b32 v5, v5, v30, vcc_lo
	s_delay_alu instid0(VALU_DEP_1) | instskip(NEXT) | instid1(VALU_DEP_2)
	v_cvt_f64_u32_e32 v[34:35], v7
	v_cvt_f64_u32_e32 v[36:37], v5
	v_and_b32_e32 v5, 31, v6
	s_delay_alu instid0(VALU_DEP_1) | instskip(NEXT) | instid1(VALU_DEP_1)
	v_sub_nc_u32_e32 v32, v8, v5
	v_lshl_add_u64 v[30:31], v[32:33], 3, v[18:19]
	v_ashrrev_i32_e32 v33, 31, v32
	s_delay_alu instid0(VALU_DEP_1)
	v_lshl_add_u64 v[32:33], v[32:33], 3, v[18:19]
	flat_store_b128 v[10:11], v[34:37]
	s_wait_storecnt_dscnt 0x0
	s_barrier_signal -1
	s_barrier_wait -1
	s_clause 0x1
	flat_load_b64 v[34:35], v[30:31]
	flat_load_b64 v[36:37], v[32:33] offset:256
	s_wait_loadcnt_dscnt 0x101
	v_cvt_u32_f64_e32 v5, v[34:35]
	s_wait_loadcnt_dscnt 0x0
	v_cvt_u32_f64_e32 v7, v[36:37]
	v_and_b32_e32 v34, 32, v6
	s_delay_alu instid0(VALU_DEP_1) | instskip(NEXT) | instid1(VALU_DEP_3)
	v_cmp_eq_u32_e32 vcc_lo, 0, v34
	v_max_u32_e32 v35, v5, v7
	v_min_u32_e32 v5, v5, v7
	s_delay_alu instid0(VALU_DEP_1) | instskip(NEXT) | instid1(VALU_DEP_1)
	v_dual_cndmask_b32 v7, v35, v5, vcc_lo :: v_dual_cndmask_b32 v5, v5, v35, vcc_lo
	v_cvt_f64_u32_e32 v[34:35], v7
	s_delay_alu instid0(VALU_DEP_2)
	v_cvt_f64_u32_e32 v[36:37], v5
	s_clause 0x1
	flat_store_b64 v[30:31], v[34:35]
	flat_store_b64 v[32:33], v[36:37] offset:256
	s_wait_storecnt_dscnt 0x0
	s_barrier_signal -1
	s_barrier_wait -1
	s_clause 0x1
	flat_load_b64 v[34:35], v[26:27]
	flat_load_b64 v[36:37], v[28:29] offset:128
	s_wait_loadcnt_dscnt 0x101
	v_cvt_u32_f64_e32 v5, v[34:35]
	s_wait_loadcnt_dscnt 0x0
	v_cvt_u32_f64_e32 v7, v[36:37]
	s_delay_alu instid0(VALU_DEP_1) | instskip(SKIP_1) | instid1(VALU_DEP_1)
	v_max_u32_e32 v34, v5, v7
	v_min_u32_e32 v5, v5, v7
	v_dual_cndmask_b32 v7, v34, v5, vcc_lo :: v_dual_cndmask_b32 v5, v5, v34, vcc_lo
	s_delay_alu instid0(VALU_DEP_1) | instskip(NEXT) | instid1(VALU_DEP_2)
	v_cvt_f64_u32_e32 v[34:35], v7
	v_cvt_f64_u32_e32 v[36:37], v5
	s_clause 0x1
	flat_store_b64 v[26:27], v[34:35]
	flat_store_b64 v[28:29], v[36:37] offset:128
	s_wait_storecnt_dscnt 0x0
	s_barrier_signal -1
	s_barrier_wait -1
	s_clause 0x1
	flat_load_b64 v[34:35], v[22:23]
	flat_load_b64 v[36:37], v[24:25] offset:64
	s_wait_loadcnt_dscnt 0x101
	v_cvt_u32_f64_e32 v5, v[34:35]
	s_wait_loadcnt_dscnt 0x0
	v_cvt_u32_f64_e32 v7, v[36:37]
	s_delay_alu instid0(VALU_DEP_1) | instskip(SKIP_1) | instid1(VALU_DEP_1)
	v_max_u32_e32 v34, v5, v7
	v_min_u32_e32 v5, v5, v7
	v_dual_cndmask_b32 v7, v34, v5, vcc_lo :: v_dual_cndmask_b32 v5, v5, v34, vcc_lo
	s_delay_alu instid0(VALU_DEP_1) | instskip(NEXT) | instid1(VALU_DEP_2)
	v_cvt_f64_u32_e32 v[34:35], v7
	;; [unrolled: 20-line block ×4, first 2 shown]
	v_cvt_f64_u32_e32 v[36:37], v5
	s_clause 0x1
	flat_store_b64 v[12:13], v[34:35]
	flat_store_b64 v[14:15], v[36:37] offset:16
	s_wait_storecnt_dscnt 0x0
	s_barrier_signal -1
	s_barrier_wait -1
	flat_load_b128 v[34:37], v[10:11]
	s_wait_loadcnt_dscnt 0x0
	v_cvt_u32_f64_e32 v5, v[34:35]
	v_cvt_u32_f64_e32 v7, v[36:37]
	v_mov_b32_e32 v37, v9
	s_delay_alu instid0(VALU_DEP_2) | instskip(SKIP_1) | instid1(VALU_DEP_1)
	v_max_u32_e32 v34, v5, v7
	v_min_u32_e32 v5, v5, v7
	v_dual_cndmask_b32 v7, v34, v5, vcc_lo :: v_dual_cndmask_b32 v5, v5, v34, vcc_lo
	s_delay_alu instid0(VALU_DEP_1) | instskip(NEXT) | instid1(VALU_DEP_2)
	v_cvt_f64_u32_e32 v[48:49], v7
	v_cvt_f64_u32_e32 v[50:51], v5
	v_and_b32_e32 v5, 63, v6
	s_delay_alu instid0(VALU_DEP_1) | instskip(NEXT) | instid1(VALU_DEP_1)
	v_sub_nc_u32_e32 v36, v8, v5
	v_lshl_add_u64 v[34:35], v[36:37], 3, v[18:19]
	v_ashrrev_i32_e32 v37, 31, v36
	s_delay_alu instid0(VALU_DEP_1)
	v_lshl_add_u64 v[36:37], v[36:37], 3, v[18:19]
	flat_store_b128 v[10:11], v[48:51]
	s_wait_storecnt_dscnt 0x0
	s_barrier_signal -1
	s_barrier_wait -1
	s_clause 0x1
	flat_load_b64 v[38:39], v[34:35]
	flat_load_b64 v[48:49], v[36:37] offset:512
	s_wait_loadcnt_dscnt 0x101
	v_cvt_u32_f64_e32 v5, v[38:39]
	s_wait_loadcnt_dscnt 0x0
	v_cvt_u32_f64_e32 v7, v[48:49]
	v_and_b32_e32 v38, 64, v6
	s_delay_alu instid0(VALU_DEP_1) | instskip(NEXT) | instid1(VALU_DEP_3)
	v_cmp_eq_u32_e32 vcc_lo, 0, v38
	v_max_u32_e32 v39, v5, v7
	v_min_u32_e32 v5, v5, v7
	s_delay_alu instid0(VALU_DEP_1) | instskip(NEXT) | instid1(VALU_DEP_1)
	v_dual_cndmask_b32 v7, v39, v5, vcc_lo :: v_dual_cndmask_b32 v5, v5, v39, vcc_lo
	v_cvt_f64_u32_e32 v[38:39], v7
	s_delay_alu instid0(VALU_DEP_2)
	v_cvt_f64_u32_e32 v[48:49], v5
	s_clause 0x1
	flat_store_b64 v[34:35], v[38:39]
	flat_store_b64 v[36:37], v[48:49] offset:512
	s_wait_storecnt_dscnt 0x0
	s_barrier_signal -1
	s_barrier_wait -1
	s_clause 0x1
	flat_load_b64 v[38:39], v[30:31]
	flat_load_b64 v[48:49], v[32:33] offset:256
	s_wait_loadcnt_dscnt 0x101
	v_cvt_u32_f64_e32 v5, v[38:39]
	s_wait_loadcnt_dscnt 0x0
	v_cvt_u32_f64_e32 v7, v[48:49]
	s_delay_alu instid0(VALU_DEP_1) | instskip(SKIP_1) | instid1(VALU_DEP_1)
	v_max_u32_e32 v38, v5, v7
	v_min_u32_e32 v5, v5, v7
	v_dual_cndmask_b32 v7, v38, v5, vcc_lo :: v_dual_cndmask_b32 v5, v5, v38, vcc_lo
	s_delay_alu instid0(VALU_DEP_1) | instskip(NEXT) | instid1(VALU_DEP_2)
	v_cvt_f64_u32_e32 v[38:39], v7
	v_cvt_f64_u32_e32 v[48:49], v5
	s_clause 0x1
	flat_store_b64 v[30:31], v[38:39]
	flat_store_b64 v[32:33], v[48:49] offset:256
	s_wait_storecnt_dscnt 0x0
	s_barrier_signal -1
	s_barrier_wait -1
	s_clause 0x1
	flat_load_b64 v[38:39], v[26:27]
	flat_load_b64 v[48:49], v[28:29] offset:128
	s_wait_loadcnt_dscnt 0x101
	v_cvt_u32_f64_e32 v5, v[38:39]
	s_wait_loadcnt_dscnt 0x0
	v_cvt_u32_f64_e32 v7, v[48:49]
	s_delay_alu instid0(VALU_DEP_1) | instskip(SKIP_1) | instid1(VALU_DEP_1)
	v_max_u32_e32 v38, v5, v7
	v_min_u32_e32 v5, v5, v7
	v_dual_cndmask_b32 v7, v38, v5, vcc_lo :: v_dual_cndmask_b32 v5, v5, v38, vcc_lo
	s_delay_alu instid0(VALU_DEP_1) | instskip(NEXT) | instid1(VALU_DEP_2)
	v_cvt_f64_u32_e32 v[38:39], v7
	;; [unrolled: 20-line block ×5, first 2 shown]
	v_cvt_f64_u32_e32 v[48:49], v5
	s_clause 0x1
	flat_store_b64 v[12:13], v[38:39]
	flat_store_b64 v[14:15], v[48:49] offset:16
	s_wait_storecnt_dscnt 0x0
	s_barrier_signal -1
	s_barrier_wait -1
	flat_load_b128 v[48:51], v[10:11]
	s_wait_loadcnt_dscnt 0x0
	v_cvt_u32_f64_e32 v5, v[48:49]
	v_cvt_u32_f64_e32 v7, v[50:51]
	s_delay_alu instid0(VALU_DEP_1) | instskip(SKIP_1) | instid1(VALU_DEP_1)
	v_max_u32_e32 v38, v5, v7
	v_min_u32_e32 v5, v5, v7
	v_dual_cndmask_b32 v7, v38, v5, vcc_lo :: v_dual_cndmask_b32 v5, v5, v38, vcc_lo
	s_delay_alu instid0(VALU_DEP_1) | instskip(NEXT) | instid1(VALU_DEP_2)
	v_cvt_f64_u32_e32 v[48:49], v7
	v_cvt_f64_u32_e32 v[50:51], v5
	v_and_b32_e32 v5, 0x7f, v6
	s_delay_alu instid0(VALU_DEP_1) | instskip(NEXT) | instid1(VALU_DEP_1)
	v_sub_nc_u32_e32 v8, v8, v5
	v_dual_mov_b32 v38, v8 :: v_dual_ashrrev_i32 v39, 31, v8
	v_lshl_add_u64 v[52:53], v[8:9], 3, v[18:19]
	s_delay_alu instid0(VALU_DEP_2)
	v_lshl_add_u64 v[18:19], v[38:39], 3, v[18:19]
	flat_store_b128 v[10:11], v[48:51]
	s_wait_storecnt_dscnt 0x0
	s_barrier_signal -1
	s_barrier_wait -1
	s_clause 0x1
	flat_load_b64 v[38:39], v[52:53]
	flat_load_b64 v[48:49], v[18:19] offset:1024
	s_wait_loadcnt_dscnt 0x101
	v_cvt_u32_f64_e32 v5, v[38:39]
	s_wait_loadcnt_dscnt 0x0
	v_cvt_u32_f64_e32 v7, v[48:49]
	s_delay_alu instid0(VALU_DEP_1) | instskip(SKIP_1) | instid1(VALU_DEP_2)
	v_min_u32_e32 v8, v5, v7
	v_max_u32_e32 v5, v5, v7
	v_cvt_f64_u32_e32 v[38:39], v8
	s_delay_alu instid0(VALU_DEP_2)
	v_cvt_f64_u32_e32 v[48:49], v5
	s_clause 0x1
	flat_store_b64 v[52:53], v[38:39]
	flat_store_b64 v[18:19], v[48:49] offset:1024
	s_wait_storecnt_dscnt 0x0
	s_barrier_signal -1
	s_barrier_wait -1
	s_clause 0x1
	flat_load_b64 v[18:19], v[34:35]
	flat_load_b64 v[38:39], v[36:37] offset:512
	s_wait_loadcnt_dscnt 0x101
	v_cvt_u32_f64_e32 v5, v[18:19]
	s_wait_loadcnt_dscnt 0x0
	v_cvt_u32_f64_e32 v7, v[38:39]
	s_delay_alu instid0(VALU_DEP_1) | instskip(SKIP_1) | instid1(VALU_DEP_2)
	v_min_u32_e32 v8, v5, v7
	v_max_u32_e32 v5, v5, v7
	v_cvt_f64_u32_e32 v[18:19], v8
	s_delay_alu instid0(VALU_DEP_2)
	v_cvt_f64_u32_e32 v[38:39], v5
	s_clause 0x1
	flat_store_b64 v[34:35], v[18:19]
	flat_store_b64 v[36:37], v[38:39] offset:512
	;; [unrolled: 19-line block ×7, first 2 shown]
	s_wait_storecnt_dscnt 0x0
	s_barrier_signal -1
	s_barrier_wait -1
	flat_load_b128 v[12:15], v[10:11]
	s_wait_loadcnt_dscnt 0x0
	v_cvt_u32_f64_e32 v5, v[12:13]
	v_cvt_u32_f64_e32 v7, v[14:15]
	s_delay_alu instid0(VALU_DEP_1) | instskip(SKIP_1) | instid1(VALU_DEP_2)
	v_min_u32_e32 v8, v5, v7
	v_max_u32_e32 v5, v5, v7
	v_cvt_f64_u32_e32 v[12:13], v8
	s_delay_alu instid0(VALU_DEP_2)
	v_cvt_f64_u32_e32 v[14:15], v5
	flat_store_b128 v[10:11], v[12:15]
	s_wait_storecnt_dscnt 0x0
	s_barrier_signal -1
	s_barrier_wait -1
	s_wait_xcnt 0x0
	v_cmpx_gt_u32_e32 0x100, v6
	s_cbranch_execz .LBB7_20
.LBB7_19:                               ; =>This Inner Loop Header: Depth=1
	v_add_nc_u32_e32 v5, 0x80, v6
	v_add_nc_u32_e32 v8, v4, v6
	v_cmp_lt_u32_e32 vcc_lo, 0x7f, v6
	s_delay_alu instid0(VALU_DEP_3) | instskip(NEXT) | instid1(VALU_DEP_3)
	v_mov_b32_e32 v6, v5
	v_lshlrev_b64_e32 v[10:11], 3, v[8:9]
	s_or_b32 s1, vcc_lo, s1
	s_delay_alu instid0(VALU_DEP_1)
	v_add_nc_u64_e32 v[12:13], v[0:1], v[10:11]
	v_add_nc_u64_e32 v[10:11], v[2:3], v[10:11]
	flat_load_b64 v[12:13], v[12:13]
	s_wait_loadcnt_dscnt 0x0
	flat_store_b64 v[10:11], v[12:13]
	s_wait_xcnt 0x0
	s_and_not1_b32 exec_lo, exec_lo, s1
	s_cbranch_execnz .LBB7_19
.LBB7_20:
	s_or_b32 exec_lo, exec_lo, s2
	s_delay_alu instid0(SALU_CYCLE_1)
	s_or_b32 exec_lo, exec_lo, s0
	s_wait_dscnt 0x0
	s_set_pc_i64 s[30:31]
.Lfunc_end7:
	.size	_Z14sort_thresholdIdEvPT_S1_jjS1_j, .Lfunc_end7-_Z14sort_thresholdIdEvPT_S1_jjS1_j
                                        ; -- End function
	.set .L_Z14sort_thresholdIdEvPT_S1_jjS1_j.num_vgpr, 54
	.set .L_Z14sort_thresholdIdEvPT_S1_jjS1_j.num_agpr, 0
	.set .L_Z14sort_thresholdIdEvPT_S1_jjS1_j.numbered_sgpr, 32
	.set .L_Z14sort_thresholdIdEvPT_S1_jjS1_j.num_named_barrier, 0
	.set .L_Z14sort_thresholdIdEvPT_S1_jjS1_j.private_seg_size, 0
	.set .L_Z14sort_thresholdIdEvPT_S1_jjS1_j.uses_vcc, 1
	.set .L_Z14sort_thresholdIdEvPT_S1_jjS1_j.uses_flat_scratch, 1
	.set .L_Z14sort_thresholdIdEvPT_S1_jjS1_j.has_dyn_sized_stack, 0
	.set .L_Z14sort_thresholdIdEvPT_S1_jjS1_j.has_recursion, 0
	.set .L_Z14sort_thresholdIdEvPT_S1_jjS1_j.has_indirect_call, 0
	.section	.AMDGPU.csdata,"",@progbits
; Function info:
; codeLenInByte = 7744
; TotalNumSgprs: 34
; NumVgprs: 54
; ScratchSize: 0
; MemoryBound: 0
	.section	.text._Z13lqsort_kernelIdEvPT_S1_P11work_recordIS0_E,"axG",@progbits,_Z13lqsort_kernelIdEvPT_S1_P11work_recordIS0_E,comdat
	.protected	_Z13lqsort_kernelIdEvPT_S1_P11work_recordIS0_E ; -- Begin function _Z13lqsort_kernelIdEvPT_S1_P11work_recordIS0_E
	.globl	_Z13lqsort_kernelIdEvPT_S1_P11work_recordIS0_E
	.p2align	8
	.type	_Z13lqsort_kernelIdEvPT_S1_P11work_recordIS0_E,@function
_Z13lqsort_kernelIdEvPT_S1_P11work_recordIS0_E: ; @_Z13lqsort_kernelIdEvPT_S1_P11work_recordIS0_E
; %bb.0:
	s_clause 0x1
	s_load_b64 s[2:3], s[0:1], 0x10
	s_load_b128 s[16:19], s[0:1], 0x0
	s_bfe_u32 s4, ttmp6, 0x4000c
	s_and_b32 s5, ttmp6, 15
	s_add_co_i32 s4, s4, 1
	s_getreg_b32 s6, hwreg(HW_REG_IB_STS2, 6, 4)
	s_mul_i32 s4, ttmp9, s4
	v_dual_mov_b32 v44, v0 :: v_dual_mov_b32 v0, 0
	s_add_co_i32 s4, s5, s4
	s_cmp_eq_u32 s6, 0
	s_mov_b32 s5, 0
	s_cselect_b32 s4, ttmp9, s4
	s_mov_b32 s32, 0
	s_mul_u64 s[4:5], s[4:5], 24
	s_wait_kmcnt 0x0
	s_add_nc_u64 s[2:3], s[2:3], s[4:5]
	v_cmp_eq_u32_e64 s5, 0, v44
	s_clause 0x1
	global_load_b64 v[46:47], v0, s[2:3]
	global_load_b32 v3, v0, s[2:3] offset:16
	s_wait_loadcnt 0x1
	v_sub_nc_u32_e32 v1, v47, v46
	s_wait_xcnt 0x0
	s_and_saveexec_b32 s2, s5
	s_cbranch_execz .LBB8_2
; %bb.1:
	v_mov_b32_e32 v2, 1
	ds_store_b32 v0, v0 offset:30212
	ds_store_b96 v0, v[0:2] offset:30752
.LBB8_2:
	s_or_b32 exec_lo, exec_lo, s2
	s_wait_loadcnt 0x0
	v_cmp_eq_u32_e32 vcc_lo, 1, v3
	v_cmp_lt_u32_e64 s2, v44, v1
	s_mov_b32 s3, -1
	s_cbranch_vccnz .LBB8_7
; %bb.3:
	s_and_saveexec_b32 s3, s2
	s_cbranch_execz .LBB8_6
; %bb.4:
	v_dual_lshlrev_b32 v0, 3, v44 :: v_dual_mov_b32 v2, v44
	s_mov_b32 s4, 0
.LBB8_5:                                ; =>This Inner Loop Header: Depth=1
	s_delay_alu instid0(VALU_DEP_1)
	v_add_nc_u32_e32 v3, v46, v2
	v_add_nc_u32_e32 v2, 0x80, v2
	global_load_b64 v[4:5], v3, s[18:19] scale_offset
	v_cmp_ge_u32_e32 vcc_lo, v2, v1
	s_or_b32 s4, vcc_lo, s4
	s_wait_loadcnt 0x0
	ds_store_b64 v0, v[4:5]
	v_add_nc_u32_e32 v0, 0x400, v0
	s_wait_xcnt 0x0
	s_and_not1_b32 exec_lo, exec_lo, s4
	s_cbranch_execnz .LBB8_5
.LBB8_6:
	s_or_b32 exec_lo, exec_lo, s3
	s_mov_b32 s3, 0
.LBB8_7:
	s_delay_alu instid0(SALU_CYCLE_1)
	s_and_not1_b32 vcc_lo, exec_lo, s3
	s_cbranch_vccnz .LBB8_12
; %bb.8:
	s_and_saveexec_b32 s3, s2
	s_cbranch_execz .LBB8_11
; %bb.9:
	v_dual_lshlrev_b32 v0, 3, v44 :: v_dual_mov_b32 v2, v44
	s_mov_b32 s2, 0
.LBB8_10:                               ; =>This Inner Loop Header: Depth=1
	s_delay_alu instid0(VALU_DEP_1)
	v_add_nc_u32_e32 v3, v46, v2
	v_add_nc_u32_e32 v2, 0x80, v2
	global_load_b64 v[4:5], v3, s[16:17] scale_offset
	v_cmp_ge_u32_e32 vcc_lo, v2, v1
	s_or_b32 s2, vcc_lo, s2
	s_wait_loadcnt 0x0
	ds_store_b64 v0, v[4:5]
	v_add_nc_u32_e32 v0, 0x400, v0
	s_and_not1_b32 exec_lo, exec_lo, s2
	s_cbranch_execnz .LBB8_10
.LBB8_11:
	s_or_b32 exec_lo, exec_lo, s3
.LBB8_12:
	v_mov_b32_e32 v47, 0
	s_wait_dscnt 0x0
	s_barrier_signal -1
	s_barrier_wait -1
	ds_load_b32 v0, v47 offset:30212
	s_wait_dscnt 0x0
	v_cmp_gt_i32_e32 vcc_lo, 0, v0
	s_cbranch_vccnz .LBB8_75
; %bb.13:
	v_lshlrev_b64_e32 v[2:3], 3, v[46:47]
	v_dual_lshlrev_b32 v1, 2, v44 :: v_dual_bitop2_b32 v4, 1, v44 bitop3:0x40
	v_and_b32_e32 v5, 3, v44
	s_mov_b64 s[14:15], src_shared_base
	v_add_nc_u32_e64 v69, 0x7600, 0
	s_delay_alu instid0(VALU_DEP_3)
	v_add_nc_u32_e32 v45, 0x7400, v1
	v_add_nc_u64_e32 v[40:41], s[16:17], v[2:3]
	v_and_b32_e32 v2, 7, v44
	v_and_b32_e32 v3, 15, v44
	v_add_nc_u32_e32 v54, 0x7610, v1
	v_cmp_eq_u32_e64 s6, 1, v4
	v_add_nc_u32_e32 v55, 0x760c, v1
	v_cmp_eq_u32_e64 s10, 7, v2
	v_and_b32_e32 v2, 31, v44
	v_cmp_eq_u32_e64 s11, 15, v3
	v_and_b32_e32 v3, 63, v44
	v_add_nc_u32_e32 v56, 0x73fc, v1
	v_cmp_eq_u32_e64 s7, 3, v5
	v_cmp_eq_u32_e64 s12, 31, v2
	v_and_b32_e32 v2, 0x7f, v44
	v_add_nc_u32_e32 v57, 0x7608, v1
	v_add_nc_u32_e32 v58, 0x73f8, v1
	;; [unrolled: 1-line block ×8, first 2 shown]
	v_cmp_eq_u32_e64 s13, 63, v3
	v_add_nc_u32_e32 v65, 0x7590, v1
	v_add_nc_u32_e32 v66, 0x7380, v1
	v_cmp_eq_u32_e64 s14, 0x7f, v2
	v_add_nc_u32_e32 v67, 0x7510, v1
	v_add_nc_u32_e32 v68, 0x7300, v1
	v_add_nc_u32_e64 v70, 0x7400, 0
	v_add_nc_u32_e64 v71, 0x7800, 0
	s_add_nc_u64 s[8:9], s[0:1], 24
	s_get_pc_i64 s[18:19]
	s_add_nc_u64 s[18:19], s[18:19], _Z14sort_thresholdIdEvPT_S1_jjS1_j@rel64+4
	s_branch .LBB8_15
.LBB8_14:                               ;   in Loop: Header=BB8_15 Depth=1
	ds_load_b32 v0, v47 offset:30212
	s_wait_dscnt 0x0
	v_cmp_lt_i32_e32 vcc_lo, -1, v0
	s_cbranch_vccz .LBB8_75
.LBB8_15:                               ; =>This Loop Header: Depth=1
                                        ;     Child Loop BB8_21 Depth 2
                                        ;     Child Loop BB8_56 Depth 2
	;; [unrolled: 1-line block ×3, first 2 shown]
	v_mul_lo_u32 v0, v0, 12
	s_delay_alu instid0(VALU_DEP_1)
	v_add_nc_u32_e32 v1, 0x7820, v0
	ds_load_2addr_b32 v[42:43], v1 offset1:1
	ds_load_b32 v72, v0 offset:30760
	s_wait_dscnt 0x0
	s_barrier_signal -1
	s_barrier_wait -1
	s_and_saveexec_b32 s0, s5
	s_cbranch_execz .LBB8_17
; %bb.16:                               ;   in Loop: Header=BB8_15 Depth=1
	ds_load_b32 v0, v47 offset:30212
	s_wait_dscnt 0x0
	v_add_nc_u32_e32 v0, -1, v0
	ds_store_2addr_b32 v69, v0, v47 offset0:1 offset1:133
	ds_store_b32 v47, v47 offset:30824
.LBB8_17:                               ;   in Loop: Header=BB8_15 Depth=1
	s_or_b32 exec_lo, exec_lo, s0
	v_cmp_eq_u32_e32 vcc_lo, 1, v72
	v_dual_mov_b32 v1, s15 :: v_dual_mov_b32 v3, s15
	v_cndmask_b32_e64 v0, 0x3600, 0, vcc_lo
	v_cndmask_b32_e64 v2, 0, 0x3600, vcc_lo
	v_cmp_ge_u32_e32 vcc_lo, v42, v43
	ds_store_b32 v45, v47
	ds_store_b32 v54, v47
	ds_store_2addr_b64 v70, v[0:1], v[2:3] offset0:65 offset1:131
	s_wait_dscnt 0x0
	s_barrier_signal -1
	s_barrier_wait -1
	ds_load_b64 v[0:1], v47 offset:30216
	s_and_b32 vcc_lo, exec_lo, vcc_lo
	s_wait_dscnt 0x0
	v_readfirstlane_b32 s0, v0
	v_readfirstlane_b32 s1, v1
	flat_load_b64 v[2:3], v42, s[0:1] scale_offset
	s_wait_loadcnt_dscnt 0x0
	v_cvt_u32_f64_e32 v6, v[2:3]
	s_cbranch_vccnz .LBB8_19
; %bb.18:                               ;   in Loop: Header=BB8_15 Depth=1
	v_dual_add_nc_u32 v2, v43, v42 :: v_dual_add_nc_u32 v8, -1, v43
	s_wait_xcnt 0x0
	v_readfirstlane_b32 s0, v0
	v_readfirstlane_b32 s1, v1
	s_delay_alu instid0(VALU_DEP_3)
	v_lshrrev_b32_e32 v7, 1, v2
	s_clause 0x1
	flat_load_b64 v[2:3], v7, s[0:1] scale_offset
	flat_load_b64 v[4:5], v8, s[0:1] scale_offset
	s_wait_loadcnt_dscnt 0x101
	v_cvt_u32_f64_e32 v2, v[2:3]
	s_wait_loadcnt_dscnt 0x0
	v_cvt_u32_f64_e32 v3, v[4:5]
	s_delay_alu instid0(VALU_DEP_2) | instskip(NEXT) | instid1(VALU_DEP_2)
	v_max_u32_e32 v4, v6, v2
	v_minmax_u32 v2, v6, v2, v3
	s_delay_alu instid0(VALU_DEP_2) | instskip(NEXT) | instid1(VALU_DEP_2)
	v_cmp_lt_u32_e32 vcc_lo, v4, v3
	v_cndmask_b32_e32 v6, v2, v4, vcc_lo
.LBB8_19:                               ;   in Loop: Header=BB8_15 Depth=1
	s_wait_xcnt 0x1
	v_dual_mov_b32 v2, 0 :: v_dual_add_nc_u32 v7, v42, v44
	v_mov_b32_e32 v3, 0
	s_delay_alu instid0(VALU_DEP_2)
	v_cmp_lt_u32_e32 vcc_lo, v7, v43
	s_wait_xcnt 0x0
	s_and_saveexec_b32 s2, vcc_lo
	s_cbranch_execz .LBB8_23
; %bb.20:                               ;   in Loop: Header=BB8_15 Depth=1
	v_dual_mov_b32 v2, 0 :: v_dual_mov_b32 v3, 0
	v_mov_b32_e32 v4, v7
	s_mov_b32 s3, 0
.LBB8_21:                               ;   Parent Loop BB8_15 Depth=1
                                        ; =>  This Inner Loop Header: Depth=2
	v_readfirstlane_b32 s0, v0
	v_readfirstlane_b32 s1, v1
	flat_load_b64 v[8:9], v4, s[0:1] scale_offset
	s_wait_xcnt 0x0
	v_add_nc_u32_e32 v4, 0x80, v4
	s_delay_alu instid0(VALU_DEP_1) | instskip(SKIP_3) | instid1(VALU_DEP_1)
	v_cmp_ge_u32_e64 s0, v4, v43
	s_or_b32 s3, s0, s3
	s_wait_loadcnt_dscnt 0x0
	v_cvt_u32_f64_e32 v5, v[8:9]
	v_cmp_gt_u32_e64 s1, v6, v5
	s_delay_alu instid0(VALU_DEP_1) | instskip(SKIP_1) | instid1(VALU_DEP_1)
	v_add_co_ci_u32_e64 v2, null, 0, v2, s1
	v_cmp_lt_u32_e64 s1, v6, v5
	v_add_co_ci_u32_e64 v3, null, 0, v3, s1
	s_and_not1_b32 exec_lo, exec_lo, s3
	s_cbranch_execnz .LBB8_21
; %bb.22:                               ;   in Loop: Header=BB8_15 Depth=1
	s_or_b32 exec_lo, exec_lo, s3
.LBB8_23:                               ;   in Loop: Header=BB8_15 Depth=1
	s_delay_alu instid0(SALU_CYCLE_1)
	s_or_b32 exec_lo, exec_lo, s2
	ds_store_b32 v54, v2
	ds_store_b32 v45, v3
	s_wait_dscnt 0x0
	s_barrier_signal -1
	s_barrier_wait -1
	s_and_saveexec_b32 s0, s6
	s_cbranch_execz .LBB8_25
; %bb.24:                               ;   in Loop: Header=BB8_15 Depth=1
	ds_load_2addr_b32 v[0:1], v55 offset1:1
	ds_load_2addr_b32 v[2:3], v56 offset1:1
	s_wait_dscnt 0x0
	v_dual_add_nc_u32 v0, v1, v0 :: v_dual_add_nc_u32 v1, v3, v2
	ds_store_b32 v54, v0
	ds_store_b32 v45, v1
.LBB8_25:                               ;   in Loop: Header=BB8_15 Depth=1
	s_or_b32 exec_lo, exec_lo, s0
	s_wait_dscnt 0x0
	s_barrier_signal -1
	s_barrier_wait -1
	s_and_saveexec_b32 s0, s7
	s_cbranch_execz .LBB8_27
; %bb.26:                               ;   in Loop: Header=BB8_15 Depth=1
	ds_load_b32 v0, v57
	ds_load_b32 v1, v58
	ds_load_b32 v2, v54
	ds_load_b32 v3, v45
	s_wait_dscnt 0x0
	v_dual_add_nc_u32 v0, v2, v0 :: v_dual_add_nc_u32 v1, v3, v1
	ds_store_b32 v54, v0
	ds_store_b32 v45, v1
.LBB8_27:                               ;   in Loop: Header=BB8_15 Depth=1
	s_or_b32 exec_lo, exec_lo, s0
	s_wait_dscnt 0x0
	s_barrier_signal -1
	s_barrier_wait -1
	s_and_saveexec_b32 s0, s10
	s_cbranch_execz .LBB8_29
; %bb.28:                               ;   in Loop: Header=BB8_15 Depth=1
	ds_load_b32 v0, v59
	ds_load_b32 v1, v60
	ds_load_b32 v2, v54
	ds_load_b32 v3, v45
	s_wait_dscnt 0x0
	v_dual_add_nc_u32 v0, v2, v0 :: v_dual_add_nc_u32 v1, v3, v1
	ds_store_b32 v54, v0
	ds_store_b32 v45, v1
.LBB8_29:                               ;   in Loop: Header=BB8_15 Depth=1
	;; [unrolled: 16-line block ×6, first 2 shown]
	s_or_b32 exec_lo, exec_lo, s0
	s_wait_dscnt 0x0
	s_barrier_signal -1
	s_barrier_wait -1
	s_and_saveexec_b32 s0, s14
	s_cbranch_execz .LBB8_39
; %bb.38:                               ;   in Loop: Header=BB8_15 Depth=1
	ds_load_b32 v0, v54
	ds_load_b32 v1, v45
	s_wait_dscnt 0x0
	ds_store_b64 v47, v[0:1] offset:30736
	ds_store_b32 v47, v1 offset:30208
	ds_store_b32 v47, v0 offset:30824
	ds_store_b32 v54, v47
	ds_store_b32 v45, v47
.LBB8_39:                               ;   in Loop: Header=BB8_15 Depth=1
	s_or_b32 exec_lo, exec_lo, s0
	s_and_saveexec_b32 s0, s14
	s_cbranch_execz .LBB8_41
; %bb.40:                               ;   in Loop: Header=BB8_15 Depth=1
	ds_load_b32 v0, v67
	ds_load_b32 v1, v68
	ds_load_b32 v2, v54
	ds_load_b32 v3, v45
	s_wait_dscnt 0x0
	v_dual_add_nc_u32 v0, v2, v0 :: v_dual_add_nc_u32 v1, v3, v1
	ds_store_b32 v67, v2
	ds_store_b32 v68, v3
	ds_store_b32 v54, v0
	ds_store_b32 v45, v1
.LBB8_41:                               ;   in Loop: Header=BB8_15 Depth=1
	s_or_b32 exec_lo, exec_lo, s0
	s_wait_dscnt 0x0
	s_barrier_signal -1
	s_barrier_wait -1
	s_and_saveexec_b32 s0, s13
	s_cbranch_execz .LBB8_43
; %bb.42:                               ;   in Loop: Header=BB8_15 Depth=1
	ds_load_b32 v0, v65
	ds_load_b32 v1, v66
	ds_load_b32 v2, v54
	ds_load_b32 v3, v45
	s_wait_dscnt 0x0
	v_dual_add_nc_u32 v0, v2, v0 :: v_dual_add_nc_u32 v1, v3, v1
	ds_store_b32 v65, v2
	ds_store_b32 v66, v3
	ds_store_b32 v54, v0
	ds_store_b32 v45, v1
.LBB8_43:                               ;   in Loop: Header=BB8_15 Depth=1
	s_or_b32 exec_lo, exec_lo, s0
	s_wait_dscnt 0x0
	s_barrier_signal -1
	s_barrier_wait -1
	;; [unrolled: 18-line block ×6, first 2 shown]
	s_and_saveexec_b32 s0, s6
	s_cbranch_execz .LBB8_53
; %bb.52:                               ;   in Loop: Header=BB8_15 Depth=1
	ds_load_2addr_b32 v[0:1], v55 offset1:1
	ds_load_2addr_b32 v[2:3], v56 offset1:1
	s_wait_dscnt 0x0
	v_dual_add_nc_u32 v0, v1, v0 :: v_dual_add_nc_u32 v2, v3, v2
	ds_store_2addr_b32 v55, v1, v0 offset1:1
	ds_store_2addr_b32 v56, v3, v2 offset1:1
.LBB8_53:                               ;   in Loop: Header=BB8_15 Depth=1
	s_or_b32 exec_lo, exec_lo, s0
	s_wait_dscnt 0x0
	s_barrier_signal -1
	s_barrier_wait -1
	s_and_saveexec_b32 s0, vcc_lo
	s_cbranch_execz .LBB8_60
; %bb.54:                               ;   in Loop: Header=BB8_15 Depth=1
	ds_load_b32 v4, v45 offset:4
	ds_load_b32 v5, v54
	ds_load_2addr_b64 v[0:3], v70 offset0:65 offset1:131
	v_mov_b32_e32 v10, v7
	s_mov_b32 s1, 0
	s_wait_dscnt 0x1
	v_dual_sub_nc_u32 v8, v43, v4 :: v_dual_add_nc_u32 v9, v5, v42
	s_branch .LBB8_56
.LBB8_55:                               ;   in Loop: Header=BB8_56 Depth=2
	s_or_b32 exec_lo, exec_lo, s2
	v_add_nc_u32_e32 v10, 0x80, v10
	s_delay_alu instid0(VALU_DEP_1) | instskip(SKIP_1) | instid1(SALU_CYCLE_1)
	v_cmp_ge_u32_e32 vcc_lo, v10, v43
	s_or_b32 s1, vcc_lo, s1
	s_and_not1_b32 exec_lo, exec_lo, s1
	s_cbranch_execz .LBB8_60
.LBB8_56:                               ;   Parent Loop BB8_15 Depth=1
                                        ; =>  This Inner Loop Header: Depth=2
	s_wait_dscnt 0x0
	v_readfirstlane_b32 s2, v0
	v_readfirstlane_b32 s3, v1
	flat_load_b64 v[4:5], v10, s[2:3] scale_offset
	s_wait_xcnt 0x0
	s_mov_b32 s2, exec_lo
	s_wait_loadcnt_dscnt 0x0
	v_cvt_u32_f64_e32 v11, v[4:5]
	s_delay_alu instid0(VALU_DEP_1)
	v_cvt_f64_u32_e32 v[4:5], v11
	v_cmpx_gt_u32_e64 v6, v11
	s_cbranch_execz .LBB8_58
; %bb.57:                               ;   in Loop: Header=BB8_56 Depth=2
	v_readfirstlane_b32 s20, v2
	v_readfirstlane_b32 s21, v3
	v_add_nc_u32_e32 v12, 1, v9
	flat_store_b64 v9, v[4:5], s[20:21] scale_offset
	s_wait_xcnt 0x0
	v_mov_b32_e32 v9, v12
.LBB8_58:                               ;   in Loop: Header=BB8_56 Depth=2
	s_or_b32 exec_lo, exec_lo, s2
	s_delay_alu instid0(SALU_CYCLE_1)
	s_mov_b32 s2, exec_lo
	v_cmpx_lt_u32_e64 v6, v11
	s_cbranch_execz .LBB8_55
; %bb.59:                               ;   in Loop: Header=BB8_56 Depth=2
	v_readfirstlane_b32 s20, v2
	v_readfirstlane_b32 s21, v3
	v_add_nc_u32_e32 v11, 1, v8
	flat_store_b64 v8, v[4:5], s[20:21] scale_offset
	s_wait_xcnt 0x0
	v_mov_b32_e32 v8, v11
	s_branch .LBB8_55
.LBB8_60:                               ;   in Loop: Header=BB8_15 Depth=1
	s_or_b32 exec_lo, exec_lo, s0
	s_wait_storecnt_dscnt 0x0
	s_barrier_signal -1
	s_barrier_wait -1
	ds_load_2addr_b32 v[0:1], v71 offset0:5 offset1:26
	s_mov_b32 s0, exec_lo
	s_wait_dscnt 0x0
	v_add_nc_u32_e32 v2, v7, v1
	v_sub_nc_u32_e32 v3, v43, v0
	s_delay_alu instid0(VALU_DEP_1)
	v_cmpx_lt_u32_e64 v2, v3
	s_cbranch_execz .LBB8_63
; %bb.61:                               ;   in Loop: Header=BB8_15 Depth=1
	v_cvt_f64_u32_e32 v[0:1], v6
	s_mov_b32 s1, 0
.LBB8_62:                               ;   Parent Loop BB8_15 Depth=1
                                        ; =>  This Inner Loop Header: Depth=2
	v_add_nc_u32_e32 v4, v46, v2
	v_add_nc_u32_e32 v2, 0x80, v2
	global_store_b64 v4, v[0:1], s[16:17] scale_offset
	v_cmp_ge_u32_e32 vcc_lo, v2, v3
	s_or_b32 s1, vcc_lo, s1
	s_wait_xcnt 0x0
	s_and_not1_b32 exec_lo, exec_lo, s1
	s_cbranch_execnz .LBB8_62
.LBB8_63:                               ;   in Loop: Header=BB8_15 Depth=1
	s_or_b32 exec_lo, exec_lo, s0
	s_wait_storecnt 0x0
	s_barrier_signal -1
	s_barrier_wait -1
	ds_load_b32 v2, v47 offset:30824
	s_mov_b32 s0, -1
	s_wait_dscnt 0x0
	v_cmp_lt_u32_e32 vcc_lo, 0x100, v2
	s_cbranch_vccz .LBB8_67
; %bb.64:                               ;   in Loop: Header=BB8_15 Depth=1
	s_and_saveexec_b32 s0, s5
	s_cbranch_execz .LBB8_66
; %bb.65:                               ;   in Loop: Header=BB8_15 Depth=1
	ds_load_b32 v0, v47 offset:30212
	v_dual_add_nc_u32 v3, v2, v42 :: v_dual_bitop2_b32 v5, 1, v72 bitop3:0x14
	s_wait_dscnt 0x0
	v_mul_lo_u32 v1, v0, 12
	v_add_nc_u32_e32 v0, 1, v0
	s_delay_alu instid0(VALU_DEP_2)
	v_add_nc_u32_e32 v4, 0x782c, v1
	ds_store_b32 v47, v0 offset:30212
	ds_store_2addr_b32 v4, v42, v3 offset1:1
	ds_store_b32 v1, v5 offset:30772
.LBB8_66:                               ;   in Loop: Header=BB8_15 Depth=1
	s_or_b32 exec_lo, exec_lo, s0
	s_mov_b32 s0, 0
	s_wait_dscnt 0x0
	s_barrier_signal -1
	s_barrier_wait -1
.LBB8_67:                               ;   in Loop: Header=BB8_15 Depth=1
	s_and_b32 vcc_lo, exec_lo, s0
	s_cbranch_vccz .LBB8_69
; %bb.68:                               ;   in Loop: Header=BB8_15 Depth=1
	ds_load_b64 v[0:1], v47 offset:30744
	v_dual_mov_b32 v2, v40 :: v_dual_add_nc_u32 v5, v2, v42
	v_dual_mov_b32 v3, v41 :: v_dual_mov_b32 v4, v42
	v_mov_b32_e32 v6, v44
	s_swap_pc_i64 s[30:31], s[18:19]
.LBB8_69:                               ;   in Loop: Header=BB8_15 Depth=1
	ds_load_b32 v2, v47 offset:30740
	s_mov_b32 s0, -1
	s_wait_dscnt 0x0
	v_cmp_lt_u32_e32 vcc_lo, 0x100, v2
	s_cbranch_vccnz .LBB8_71
; %bb.70:                               ;   in Loop: Header=BB8_15 Depth=1
	s_and_b32 vcc_lo, exec_lo, s0
	s_cbranch_vccz .LBB8_14
	s_branch .LBB8_74
.LBB8_71:                               ;   in Loop: Header=BB8_15 Depth=1
	s_and_saveexec_b32 s0, s5
	s_cbranch_execz .LBB8_73
; %bb.72:                               ;   in Loop: Header=BB8_15 Depth=1
	ds_load_b32 v0, v47 offset:30212
	v_dual_sub_nc_u32 v3, v43, v2 :: v_dual_bitop2_b32 v5, 1, v72 bitop3:0x14
	s_wait_dscnt 0x0
	v_mul_lo_u32 v1, v0, 12
	v_add_nc_u32_e32 v0, 1, v0
	s_delay_alu instid0(VALU_DEP_2)
	v_add_nc_u32_e32 v4, 0x782c, v1
	ds_store_b32 v47, v0 offset:30212
	ds_store_2addr_b32 v4, v3, v43 offset1:1
	ds_store_b32 v1, v5 offset:30772
.LBB8_73:                               ;   in Loop: Header=BB8_15 Depth=1
	s_or_b32 exec_lo, exec_lo, s0
	s_wait_storecnt_dscnt 0x0
	s_barrier_signal -1
	s_barrier_wait -1
	s_branch .LBB8_14
.LBB8_74:                               ;   in Loop: Header=BB8_15 Depth=1
	ds_load_b64 v[0:1], v47 offset:30744
	v_dual_sub_nc_u32 v4, v43, v2 :: v_dual_mov_b32 v2, v40
	v_dual_mov_b32 v3, v41 :: v_dual_mov_b32 v5, v43
	v_mov_b32_e32 v6, v44
	s_swap_pc_i64 s[30:31], s[18:19]
	s_branch .LBB8_14
.LBB8_75:
	s_endpgm
	.section	.rodata,"a",@progbits
	.p2align	6, 0x0
	.amdhsa_kernel _Z13lqsort_kernelIdEvPT_S1_P11work_recordIS0_E
		.amdhsa_group_segment_fixed_size 30832
		.amdhsa_private_segment_fixed_size 0
		.amdhsa_kernarg_size 280
		.amdhsa_user_sgpr_count 2
		.amdhsa_user_sgpr_dispatch_ptr 0
		.amdhsa_user_sgpr_queue_ptr 0
		.amdhsa_user_sgpr_kernarg_segment_ptr 1
		.amdhsa_user_sgpr_dispatch_id 0
		.amdhsa_user_sgpr_kernarg_preload_length 0
		.amdhsa_user_sgpr_kernarg_preload_offset 0
		.amdhsa_user_sgpr_private_segment_size 0
		.amdhsa_wavefront_size32 1
		.amdhsa_uses_dynamic_stack 0
		.amdhsa_enable_private_segment 0
		.amdhsa_system_sgpr_workgroup_id_x 1
		.amdhsa_system_sgpr_workgroup_id_y 0
		.amdhsa_system_sgpr_workgroup_id_z 0
		.amdhsa_system_sgpr_workgroup_info 0
		.amdhsa_system_vgpr_workitem_id 0
		.amdhsa_next_free_vgpr 73
		.amdhsa_next_free_sgpr 33
		.amdhsa_named_barrier_count 0
		.amdhsa_reserve_vcc 1
		.amdhsa_float_round_mode_32 0
		.amdhsa_float_round_mode_16_64 0
		.amdhsa_float_denorm_mode_32 3
		.amdhsa_float_denorm_mode_16_64 3
		.amdhsa_fp16_overflow 0
		.amdhsa_memory_ordered 1
		.amdhsa_forward_progress 1
		.amdhsa_inst_pref_size 27
		.amdhsa_round_robin_scheduling 0
		.amdhsa_exception_fp_ieee_invalid_op 0
		.amdhsa_exception_fp_denorm_src 0
		.amdhsa_exception_fp_ieee_div_zero 0
		.amdhsa_exception_fp_ieee_overflow 0
		.amdhsa_exception_fp_ieee_underflow 0
		.amdhsa_exception_fp_ieee_inexact 0
		.amdhsa_exception_int_div_zero 0
	.end_amdhsa_kernel
	.section	.text._Z13lqsort_kernelIdEvPT_S1_P11work_recordIS0_E,"axG",@progbits,_Z13lqsort_kernelIdEvPT_S1_P11work_recordIS0_E,comdat
.Lfunc_end8:
	.size	_Z13lqsort_kernelIdEvPT_S1_P11work_recordIS0_E, .Lfunc_end8-_Z13lqsort_kernelIdEvPT_S1_P11work_recordIS0_E
                                        ; -- End function
	.set _Z13lqsort_kernelIdEvPT_S1_P11work_recordIS0_E.num_vgpr, max(73, .L_Z14sort_thresholdIdEvPT_S1_jjS1_j.num_vgpr)
	.set _Z13lqsort_kernelIdEvPT_S1_P11work_recordIS0_E.num_agpr, max(0, .L_Z14sort_thresholdIdEvPT_S1_jjS1_j.num_agpr)
	.set _Z13lqsort_kernelIdEvPT_S1_P11work_recordIS0_E.numbered_sgpr, max(33, .L_Z14sort_thresholdIdEvPT_S1_jjS1_j.numbered_sgpr)
	.set _Z13lqsort_kernelIdEvPT_S1_P11work_recordIS0_E.num_named_barrier, max(0, .L_Z14sort_thresholdIdEvPT_S1_jjS1_j.num_named_barrier)
	.set _Z13lqsort_kernelIdEvPT_S1_P11work_recordIS0_E.private_seg_size, 0+max(.L_Z14sort_thresholdIdEvPT_S1_jjS1_j.private_seg_size)
	.set _Z13lqsort_kernelIdEvPT_S1_P11work_recordIS0_E.uses_vcc, or(1, .L_Z14sort_thresholdIdEvPT_S1_jjS1_j.uses_vcc)
	.set _Z13lqsort_kernelIdEvPT_S1_P11work_recordIS0_E.uses_flat_scratch, or(1, .L_Z14sort_thresholdIdEvPT_S1_jjS1_j.uses_flat_scratch)
	.set _Z13lqsort_kernelIdEvPT_S1_P11work_recordIS0_E.has_dyn_sized_stack, or(0, .L_Z14sort_thresholdIdEvPT_S1_jjS1_j.has_dyn_sized_stack)
	.set _Z13lqsort_kernelIdEvPT_S1_P11work_recordIS0_E.has_recursion, or(0, .L_Z14sort_thresholdIdEvPT_S1_jjS1_j.has_recursion)
	.set _Z13lqsort_kernelIdEvPT_S1_P11work_recordIS0_E.has_indirect_call, or(0, .L_Z14sort_thresholdIdEvPT_S1_jjS1_j.has_indirect_call)
	.section	.AMDGPU.csdata,"",@progbits
; Kernel info:
; codeLenInByte = 3364
; TotalNumSgprs: 35
; NumVgprs: 73
; ScratchSize: 0
; MemoryBound: 0
; FloatMode: 240
; IeeeMode: 1
; LDSByteSize: 30832 bytes/workgroup (compile time only)
; SGPRBlocks: 0
; VGPRBlocks: 4
; NumSGPRsForWavesPerEU: 35
; NumVGPRsForWavesPerEU: 73
; NamedBarCnt: 0
; Occupancy: 12
; WaveLimiterHint : 1
; COMPUTE_PGM_RSRC2:SCRATCH_EN: 0
; COMPUTE_PGM_RSRC2:USER_SGPR: 2
; COMPUTE_PGM_RSRC2:TRAP_HANDLER: 0
; COMPUTE_PGM_RSRC2:TGID_X_EN: 1
; COMPUTE_PGM_RSRC2:TGID_Y_EN: 0
; COMPUTE_PGM_RSRC2:TGID_Z_EN: 0
; COMPUTE_PGM_RSRC2:TIDIG_COMP_CNT: 0
	.text
	.p2alignl 7, 3214868480
	.fill 96, 4, 3214868480
	.section	.AMDGPU.gpr_maximums,"",@progbits
	.set amdgpu.max_num_vgpr, 54
	.set amdgpu.max_num_agpr, 0
	.set amdgpu.max_num_sgpr, 32
	.text
	.type	__hip_cuid_f798b7472900246d,@object ; @__hip_cuid_f798b7472900246d
	.section	.bss,"aw",@nobits
	.globl	__hip_cuid_f798b7472900246d
__hip_cuid_f798b7472900246d:
	.byte	0                               ; 0x0
	.size	__hip_cuid_f798b7472900246d, 1

	.ident	"AMD clang version 22.0.0git (https://github.com/RadeonOpenCompute/llvm-project roc-7.2.4 26084 f58b06dce1f9c15707c5f808fd002e18c2accf7e)"
	.section	".note.GNU-stack","",@progbits
	.addrsig
	.addrsig_sym __hip_cuid_f798b7472900246d
	.amdgpu_metadata
---
amdhsa.kernels:
  - .args:
      - .address_space:  global
        .offset:         0
        .size:           8
        .value_kind:     global_buffer
      - .address_space:  global
        .offset:         8
        .size:           8
        .value_kind:     global_buffer
      - .address_space:  global
        .offset:         16
        .size:           8
        .value_kind:     global_buffer
      - .address_space:  global
        .offset:         24
        .size:           8
        .value_kind:     global_buffer
      - .address_space:  global
        .offset:         32
        .size:           8
        .value_kind:     global_buffer
    .group_segment_fixed_size: 1048
    .kernarg_segment_align: 8
    .kernarg_segment_size: 40
    .language:       OpenCL C
    .language_version:
      - 2
      - 0
    .max_flat_workgroup_size: 1024
    .name:           _Z13gqsort_kernelIjEvPT_S1_P12block_recordIS0_EP13parent_recordP11work_recordIS0_E
    .private_segment_fixed_size: 0
    .sgpr_count:     34
    .sgpr_spill_count: 0
    .symbol:         _Z13gqsort_kernelIjEvPT_S1_P12block_recordIS0_EP13parent_recordP11work_recordIS0_E.kd
    .uniform_work_group_size: 1
    .uses_dynamic_stack: false
    .vgpr_count:     22
    .vgpr_spill_count: 0
    .wavefront_size: 32
  - .args:
      - .address_space:  global
        .offset:         0
        .size:           8
        .value_kind:     global_buffer
      - .address_space:  global
        .offset:         8
        .size:           8
        .value_kind:     global_buffer
      - .address_space:  global
        .offset:         16
        .size:           8
        .value_kind:     global_buffer
      - .offset:         24
        .size:           4
        .value_kind:     hidden_block_count_x
      - .offset:         28
        .size:           4
        .value_kind:     hidden_block_count_y
      - .offset:         32
        .size:           4
        .value_kind:     hidden_block_count_z
      - .offset:         36
        .size:           2
        .value_kind:     hidden_group_size_x
      - .offset:         38
        .size:           2
        .value_kind:     hidden_group_size_y
      - .offset:         40
        .size:           2
        .value_kind:     hidden_group_size_z
      - .offset:         42
        .size:           2
        .value_kind:     hidden_remainder_x
      - .offset:         44
        .size:           2
        .value_kind:     hidden_remainder_y
      - .offset:         46
        .size:           2
        .value_kind:     hidden_remainder_z
      - .offset:         64
        .size:           8
        .value_kind:     hidden_global_offset_x
      - .offset:         72
        .size:           8
        .value_kind:     hidden_global_offset_y
      - .offset:         80
        .size:           8
        .value_kind:     hidden_global_offset_z
      - .offset:         88
        .size:           2
        .value_kind:     hidden_grid_dims
    .group_segment_fixed_size: 15984
    .kernarg_segment_align: 8
    .kernarg_segment_size: 280
    .language:       OpenCL C
    .language_version:
      - 2
      - 0
    .max_flat_workgroup_size: 1024
    .name:           _Z13lqsort_kernelIjEvPT_S1_P11work_recordIS0_E
    .private_segment_fixed_size: 0
    .sgpr_count:     35
    .sgpr_spill_count: 0
    .symbol:         _Z13lqsort_kernelIjEvPT_S1_P11work_recordIS0_E.kd
    .uniform_work_group_size: 1
    .uses_dynamic_stack: false
    .vgpr_count:     70
    .vgpr_spill_count: 0
    .wavefront_size: 32
  - .args:
      - .address_space:  global
        .offset:         0
        .size:           8
        .value_kind:     global_buffer
      - .address_space:  global
        .offset:         8
        .size:           8
        .value_kind:     global_buffer
      - .address_space:  global
        .offset:         16
        .size:           8
        .value_kind:     global_buffer
      - .address_space:  global
        .offset:         24
        .size:           8
        .value_kind:     global_buffer
      - .address_space:  global
        .offset:         32
        .size:           8
        .value_kind:     global_buffer
    .group_segment_fixed_size: 1048
    .kernarg_segment_align: 8
    .kernarg_segment_size: 40
    .language:       OpenCL C
    .language_version:
      - 2
      - 0
    .max_flat_workgroup_size: 1024
    .name:           _Z13gqsort_kernelIfEvPT_S1_P12block_recordIS0_EP13parent_recordP11work_recordIS0_E
    .private_segment_fixed_size: 0
    .sgpr_count:     34
    .sgpr_spill_count: 0
    .symbol:         _Z13gqsort_kernelIfEvPT_S1_P12block_recordIS0_EP13parent_recordP11work_recordIS0_E.kd
    .uniform_work_group_size: 1
    .uses_dynamic_stack: false
    .vgpr_count:     22
    .vgpr_spill_count: 0
    .wavefront_size: 32
  - .args:
      - .address_space:  global
        .offset:         0
        .size:           8
        .value_kind:     global_buffer
      - .address_space:  global
        .offset:         8
        .size:           8
        .value_kind:     global_buffer
      - .address_space:  global
        .offset:         16
        .size:           8
        .value_kind:     global_buffer
      - .offset:         24
        .size:           4
        .value_kind:     hidden_block_count_x
      - .offset:         28
        .size:           4
        .value_kind:     hidden_block_count_y
      - .offset:         32
        .size:           4
        .value_kind:     hidden_block_count_z
      - .offset:         36
        .size:           2
        .value_kind:     hidden_group_size_x
      - .offset:         38
        .size:           2
        .value_kind:     hidden_group_size_y
      - .offset:         40
        .size:           2
        .value_kind:     hidden_group_size_z
      - .offset:         42
        .size:           2
        .value_kind:     hidden_remainder_x
      - .offset:         44
        .size:           2
        .value_kind:     hidden_remainder_y
      - .offset:         46
        .size:           2
        .value_kind:     hidden_remainder_z
      - .offset:         64
        .size:           8
        .value_kind:     hidden_global_offset_x
      - .offset:         72
        .size:           8
        .value_kind:     hidden_global_offset_y
      - .offset:         80
        .size:           8
        .value_kind:     hidden_global_offset_z
      - .offset:         88
        .size:           2
        .value_kind:     hidden_grid_dims
    .group_segment_fixed_size: 15984
    .kernarg_segment_align: 8
    .kernarg_segment_size: 280
    .language:       OpenCL C
    .language_version:
      - 2
      - 0
    .max_flat_workgroup_size: 1024
    .name:           _Z13lqsort_kernelIfEvPT_S1_P11work_recordIS0_E
    .private_segment_fixed_size: 0
    .sgpr_count:     35
    .sgpr_spill_count: 0
    .symbol:         _Z13lqsort_kernelIfEvPT_S1_P11work_recordIS0_E.kd
    .uniform_work_group_size: 1
    .uses_dynamic_stack: false
    .vgpr_count:     70
    .vgpr_spill_count: 0
    .wavefront_size: 32
  - .args:
      - .address_space:  global
        .offset:         0
        .size:           8
        .value_kind:     global_buffer
      - .address_space:  global
        .offset:         8
        .size:           8
        .value_kind:     global_buffer
      - .address_space:  global
        .offset:         16
        .size:           8
        .value_kind:     global_buffer
      - .address_space:  global
        .offset:         24
        .size:           8
        .value_kind:     global_buffer
      - .address_space:  global
        .offset:         32
        .size:           8
        .value_kind:     global_buffer
    .group_segment_fixed_size: 1048
    .kernarg_segment_align: 8
    .kernarg_segment_size: 40
    .language:       OpenCL C
    .language_version:
      - 2
      - 0
    .max_flat_workgroup_size: 1024
    .name:           _Z13gqsort_kernelIdEvPT_S1_P12block_recordIS0_EP13parent_recordP11work_recordIS0_E
    .private_segment_fixed_size: 0
    .sgpr_count:     34
    .sgpr_spill_count: 0
    .symbol:         _Z13gqsort_kernelIdEvPT_S1_P12block_recordIS0_EP13parent_recordP11work_recordIS0_E.kd
    .uniform_work_group_size: 1
    .uses_dynamic_stack: false
    .vgpr_count:     22
    .vgpr_spill_count: 0
    .wavefront_size: 32
  - .args:
      - .address_space:  global
        .offset:         0
        .size:           8
        .value_kind:     global_buffer
      - .address_space:  global
        .offset:         8
        .size:           8
        .value_kind:     global_buffer
      - .address_space:  global
        .offset:         16
        .size:           8
        .value_kind:     global_buffer
      - .offset:         24
        .size:           4
        .value_kind:     hidden_block_count_x
      - .offset:         28
        .size:           4
        .value_kind:     hidden_block_count_y
      - .offset:         32
        .size:           4
        .value_kind:     hidden_block_count_z
      - .offset:         36
        .size:           2
        .value_kind:     hidden_group_size_x
      - .offset:         38
        .size:           2
        .value_kind:     hidden_group_size_y
      - .offset:         40
        .size:           2
        .value_kind:     hidden_group_size_z
      - .offset:         42
        .size:           2
        .value_kind:     hidden_remainder_x
      - .offset:         44
        .size:           2
        .value_kind:     hidden_remainder_y
      - .offset:         46
        .size:           2
        .value_kind:     hidden_remainder_z
      - .offset:         64
        .size:           8
        .value_kind:     hidden_global_offset_x
      - .offset:         72
        .size:           8
        .value_kind:     hidden_global_offset_y
      - .offset:         80
        .size:           8
        .value_kind:     hidden_global_offset_z
      - .offset:         88
        .size:           2
        .value_kind:     hidden_grid_dims
    .group_segment_fixed_size: 30832
    .kernarg_segment_align: 8
    .kernarg_segment_size: 280
    .language:       OpenCL C
    .language_version:
      - 2
      - 0
    .max_flat_workgroup_size: 1024
    .name:           _Z13lqsort_kernelIdEvPT_S1_P11work_recordIS0_E
    .private_segment_fixed_size: 0
    .sgpr_count:     35
    .sgpr_spill_count: 0
    .symbol:         _Z13lqsort_kernelIdEvPT_S1_P11work_recordIS0_E.kd
    .uniform_work_group_size: 1
    .uses_dynamic_stack: false
    .vgpr_count:     73
    .vgpr_spill_count: 0
    .wavefront_size: 32
amdhsa.target:   amdgcn-amd-amdhsa--gfx1250
amdhsa.version:
  - 1
  - 2
...

	.end_amdgpu_metadata
